;; amdgpu-corpus repo=ROCm/rocFFT kind=compiled arch=gfx950 opt=O3
	.text
	.amdgcn_target "amdgcn-amd-amdhsa--gfx950"
	.amdhsa_code_object_version 6
	.protected	bluestein_single_fwd_len1496_dim1_sp_op_CI_CI ; -- Begin function bluestein_single_fwd_len1496_dim1_sp_op_CI_CI
	.globl	bluestein_single_fwd_len1496_dim1_sp_op_CI_CI
	.p2align	8
	.type	bluestein_single_fwd_len1496_dim1_sp_op_CI_CI,@function
bluestein_single_fwd_len1496_dim1_sp_op_CI_CI: ; @bluestein_single_fwd_len1496_dim1_sp_op_CI_CI
; %bb.0:
	s_load_dwordx4 s[8:11], s[0:1], 0x28
	v_mul_u32_u24_e32 v1, 0x15f, v0
	v_add_u32_sdwa v2, s2, v1 dst_sel:DWORD dst_unused:UNUSED_PAD src0_sel:DWORD src1_sel:WORD_1
	v_mov_b32_e32 v3, 0
	v_accvgpr_write_b32 a2, v2
	s_waitcnt lgkmcnt(0)
	v_cmp_gt_u64_e32 vcc, s[8:9], v[2:3]
	s_and_saveexec_b64 s[2:3], vcc
	s_cbranch_execz .LBB0_23
; %bb.1:
	s_load_dwordx2 s[12:13], s[0:1], 0x0
	s_load_dwordx2 s[14:15], s[0:1], 0x38
	s_movk_i32 s2, 0xbb
	v_mul_lo_u16_sdwa v1, v1, s2 dst_sel:DWORD dst_unused:UNUSED_PAD src0_sel:WORD_1 src1_sel:DWORD
	v_sub_u16_e32 v77, v0, v1
	s_movk_i32 s2, 0x58
	v_cmp_gt_u16_e32 vcc, s2, v77
	v_lshlrev_b32_e32 v68, 3, v77
	s_and_saveexec_b64 s[8:9], vcc
	s_cbranch_execz .LBB0_3
; %bb.2:
	s_load_dwordx2 s[2:3], s[0:1], 0x18
	v_accvgpr_read_b32 v10, a2
	v_mov_b32_e32 v0, s10
	v_mov_b32_e32 v1, s11
	;; [unrolled: 1-line block ×3, first 2 shown]
	s_waitcnt lgkmcnt(0)
	s_load_dwordx4 s[4:7], s[2:3], 0x0
	v_mov_b32_e32 v69, 0
	v_or_b32_e32 v76, 0x580, v77
	v_lshl_add_u64 v[22:23], s[12:13], 0, v[68:69]
	v_lshlrev_b32_e32 v36, 3, v76
	s_waitcnt lgkmcnt(0)
	v_mad_u64_u32 v[2:3], s[2:3], s6, v10, 0
	v_mad_u64_u32 v[4:5], s[2:3], s4, v77, 0
	v_mov_b32_e32 v6, v3
	v_mov_b32_e32 v8, v5
	v_mad_u64_u32 v[6:7], s[2:3], s7, v10, v[6:7]
	v_mov_b32_e32 v3, v6
	v_mad_u64_u32 v[6:7], s[2:3], s5, v77, v[8:9]
	v_mov_b32_e32 v5, v6
	v_lshl_add_u64 v[2:3], v[2:3], 3, v[0:1]
	v_lshl_add_u64 v[4:5], v[4:5], 3, v[2:3]
	v_mad_u64_u32 v[14:15], s[2:3], s4, v72, v[4:5]
	s_mul_i32 s6, s5, 0x2c0
	v_add_u32_e32 v15, s6, v15
	v_mad_u64_u32 v[16:17], s[2:3], s4, v72, v[14:15]
	v_add_u32_e32 v17, s6, v17
	v_mad_u64_u32 v[20:21], s[2:3], s4, v72, v[16:17]
	s_movk_i32 s2, 0x1000
	v_add_u32_e32 v21, s6, v21
	v_add_co_u32_e64 v24, s[2:3], s2, v22
	global_load_dwordx2 v[0:1], v[4:5], off
	s_nop 0
	global_load_dwordx2 v[4:5], v68, s[12:13]
	global_load_dwordx2 v[6:7], v68, s[12:13] offset:704
	global_load_dwordx2 v[8:9], v68, s[12:13] offset:1408
	global_load_dwordx2 v[12:13], v[14:15], off
	global_load_dwordx2 v[10:11], v[16:17], off
	s_nop 0
	global_load_dwordx2 v[14:15], v68, s[12:13] offset:2112
	global_load_dwordx2 v[16:17], v68, s[12:13] offset:2816
	;; [unrolled: 1-line block ×3, first 2 shown]
	v_addc_co_u32_e64 v25, s[2:3], 0, v23, s[2:3]
	global_load_dwordx2 v[26:27], v36, s[12:13]
	global_load_dwordx2 v[28:29], v[24:25], off offset:128
	global_load_dwordx2 v[30:31], v[24:25], off offset:832
	;; [unrolled: 1-line block ×4, first 2 shown]
	v_mad_u64_u32 v[36:37], s[2:3], s4, v72, v[20:21]
	v_add_u32_e32 v37, s6, v37
	global_load_dwordx2 v[20:21], v[20:21], off
	s_nop 0
	global_load_dwordx2 v[38:39], v[36:37], off
	v_mad_u64_u32 v[36:37], s[2:3], s4, v72, v[36:37]
	v_add_u32_e32 v37, s6, v37
	global_load_dwordx2 v[40:41], v[36:37], off
	v_mad_u64_u32 v[36:37], s[2:3], s4, v72, v[36:37]
	v_add_u32_e32 v37, s6, v37
	;; [unrolled: 3-line block ×7, first 2 shown]
	global_load_dwordx2 v[52:53], v[36:37], off
	v_mad_u64_u32 v[36:37], s[2:3], s4, v72, v[36:37]
	s_movk_i32 s2, 0x2000
	v_add_u32_e32 v37, s6, v37
	v_add_co_u32_e64 v22, s[2:3], s2, v22
	global_load_dwordx2 v[54:55], v[36:37], off
	global_load_dwordx2 v[56:57], v[24:25], off offset:2944
	v_addc_co_u32_e64 v23, s[2:3], 0, v23, s[2:3]
	v_mad_u64_u32 v[36:37], s[2:3], s4, v72, v[36:37]
	v_add_u32_e32 v37, s6, v37
	global_load_dwordx2 v[24:25], v[24:25], off offset:3648
	s_nop 0
	global_load_dwordx2 v[58:59], v[22:23], off offset:256
	global_load_dwordx2 v[60:61], v[36:37], off
	global_load_dwordx2 v[62:63], v[22:23], off offset:960
	v_mad_u64_u32 v[36:37], s[2:3], s4, v72, v[36:37]
	v_add_u32_e32 v37, s6, v37
	global_load_dwordx2 v[66:67], v[36:37], off
	global_load_dwordx2 v[70:71], v[22:23], off offset:1664
	v_mad_u64_u32 v[36:37], s[2:3], s4, v72, v[36:37]
	v_mad_u64_u32 v[64:65], s[2:3], s4, v76, 0
	v_add_u32_e32 v37, s6, v37
	global_load_dwordx2 v[72:73], v[36:37], off
	global_load_dwordx2 v[74:75], v[22:23], off offset:2368
	v_mov_b32_e32 v22, v65
	v_mad_u64_u32 v[22:23], s[2:3], s5, v76, v[22:23]
	v_mov_b32_e32 v65, v22
	v_lshl_add_u64 v[2:3], v[64:65], 3, v[2:3]
	global_load_dwordx2 v[2:3], v[2:3], off
	v_add_u32_e32 v36, 0x400, v68
	s_waitcnt vmcnt(32)
	v_mul_f32_e32 v22, v0, v5
	v_fma_f32 v23, v1, v4, -v22
	v_mul_f32_e32 v22, v1, v5
	v_fmac_f32_e32 v22, v0, v4
	s_waitcnt vmcnt(29)
	v_mul_f32_e32 v0, v12, v7
	v_fma_f32 v1, v13, v6, -v0
	v_mul_f32_e32 v0, v13, v7
	v_fmac_f32_e32 v0, v12, v6
	ds_write2_b64 v68, v[22:23], v[0:1] offset1:88
	s_waitcnt vmcnt(28)
	v_mul_f32_e32 v0, v11, v9
	v_mul_f32_e32 v1, v10, v9
	s_waitcnt vmcnt(19)
	v_mul_f32_e32 v4, v21, v15
	v_mul_f32_e32 v5, v20, v15
	v_fmac_f32_e32 v0, v10, v8
	v_fma_f32 v1, v11, v8, -v1
	v_fmac_f32_e32 v4, v20, v14
	v_fma_f32 v5, v21, v14, -v5
	ds_write2_b64 v36, v[0:1], v[4:5] offset0:48 offset1:136
	s_waitcnt vmcnt(18)
	v_mul_f32_e32 v0, v39, v17
	v_mul_f32_e32 v1, v38, v17
	s_waitcnt vmcnt(17)
	v_mul_f32_e32 v4, v41, v19
	v_mul_f32_e32 v5, v40, v19
	v_fmac_f32_e32 v0, v38, v16
	v_fma_f32 v1, v39, v16, -v1
	v_fmac_f32_e32 v4, v40, v18
	v_fma_f32 v5, v41, v18, -v5
	v_add_u32_e32 v6, 0x800, v68
	ds_write2_b64 v6, v[0:1], v[4:5] offset0:96 offset1:184
	s_waitcnt vmcnt(16)
	v_mul_f32_e32 v0, v43, v29
	v_mul_f32_e32 v1, v42, v29
	s_waitcnt vmcnt(15)
	v_mul_f32_e32 v4, v45, v31
	v_mul_f32_e32 v5, v44, v31
	v_fmac_f32_e32 v0, v42, v28
	v_fma_f32 v1, v43, v28, -v1
	v_fmac_f32_e32 v4, v44, v30
	v_fma_f32 v5, v45, v30, -v5
	v_add_u32_e32 v6, 0x1000, v68
	;; [unrolled: 12-line block ×3, first 2 shown]
	ds_write2_b64 v6, v[0:1], v[4:5] offset0:64 offset1:152
	s_waitcnt vmcnt(9)
	v_mul_f32_e32 v0, v51, v57
	v_mul_f32_e32 v1, v50, v57
	v_fmac_f32_e32 v0, v50, v56
	v_fma_f32 v1, v51, v56, -v1
	v_add_u32_e32 v6, 0x1800, v68
	s_waitcnt vmcnt(8)
	v_mul_f32_e32 v4, v53, v25
	v_mul_f32_e32 v5, v52, v25
	v_fmac_f32_e32 v4, v52, v24
	v_fma_f32 v5, v53, v24, -v5
	ds_write2_b64 v6, v[0:1], v[4:5] offset0:112 offset1:200
	s_waitcnt vmcnt(7)
	v_mul_f32_e32 v0, v55, v59
	v_mul_f32_e32 v1, v54, v59
	s_waitcnt vmcnt(5)
	v_mul_f32_e32 v4, v61, v63
	v_mul_f32_e32 v5, v60, v63
	v_fmac_f32_e32 v0, v54, v58
	v_fma_f32 v1, v55, v58, -v1
	v_fmac_f32_e32 v4, v60, v62
	v_fma_f32 v5, v61, v62, -v5
	v_add_u32_e32 v6, 0x2000, v68
	ds_write2_b64 v6, v[0:1], v[4:5] offset0:32 offset1:120
	s_waitcnt vmcnt(3)
	v_mul_f32_e32 v0, v67, v71
	v_mul_f32_e32 v1, v66, v71
	s_waitcnt vmcnt(1)
	v_mul_f32_e32 v4, v73, v75
	v_mul_f32_e32 v5, v72, v75
	v_fmac_f32_e32 v0, v66, v70
	v_fma_f32 v1, v67, v70, -v1
	v_fmac_f32_e32 v4, v72, v74
	v_fma_f32 v5, v73, v74, -v5
	v_add_u32_e32 v6, 0x2400, v68
	ds_write2_b64 v6, v[0:1], v[4:5] offset0:80 offset1:168
	s_waitcnt vmcnt(0)
	v_mul_f32_e32 v0, v3, v27
	v_mul_f32_e32 v1, v2, v27
	v_fmac_f32_e32 v0, v2, v26
	v_fma_f32 v1, v3, v26, -v1
	ds_write_b64 v68, v[0:1] offset:11264
.LBB0_3:
	s_or_b64 exec, exec, s[8:9]
	s_load_dwordx2 s[2:3], s[0:1], 0x20
	s_load_dwordx2 s[4:5], s[0:1], 0x8
	v_accvgpr_write_b32 a0, v77
	v_mov_b32_e32 v0, 0
	v_mov_b32_e32 v1, 0
	s_waitcnt lgkmcnt(0)
	s_barrier
	s_waitcnt lgkmcnt(0)
                                        ; implicit-def: $vgpr6
                                        ; implicit-def: $vgpr16
                                        ; implicit-def: $vgpr14
                                        ; implicit-def: $vgpr24
                                        ; implicit-def: $vgpr22
                                        ; implicit-def: $vgpr38
                                        ; implicit-def: $vgpr28
                                        ; implicit-def: $vgpr40
	s_and_saveexec_b64 s[0:1], vcc
	s_cbranch_execz .LBB0_5
; %bb.4:
	v_add_u32_e32 v4, 0x400, v68
	ds_read2_b64 v[28:31], v4 offset0:48 offset1:136
	v_add_u32_e32 v4, 0x800, v68
	v_add_u32_e32 v8, 0x1800, v68
	ds_read2_b64 v[20:23], v4 offset0:96 offset1:184
	v_add_u32_e32 v4, 0x1000, v68
	ds_read2_b64 v[16:19], v8 offset0:112 offset1:200
	;; [unrolled: 2-line block ×4, first 2 shown]
	v_add_u32_e32 v8, 0x2400, v68
	ds_read2_b64 v[0:3], v68 offset1:88
	ds_read2_b64 v[4:7], v4 offset0:64 offset1:152
	ds_read2_b64 v[36:39], v8 offset0:80 offset1:168
	ds_read_b64 v[40:41], v68 offset:11264
.LBB0_5:
	s_or_b64 exec, exec, s[0:1]
	s_waitcnt lgkmcnt(0)
	v_pk_add_f32 v[60:61], v[2:3], v[40:41] neg_lo:[0,1] neg_hi:[0,1]
	s_mov_b32 s18, 0xbf2c7751
	v_pk_add_f32 v[42:43], v[40:41], v[2:3]
	v_pk_add_f32 v[76:77], v[28:29], v[38:39] neg_lo:[0,1] neg_hi:[0,1]
	s_mov_b32 s6, 0x3f3d2fb0
	v_pk_mul_f32 v[8:9], v[60:61], s[18:19] op_sel_hi:[1,0]
	s_mov_b32 s10, 0xbf7ee86f
	v_pk_add_f32 v[72:73], v[38:39], v[28:29]
	v_pk_fma_f32 v[32:33], v[42:43], s[6:7], v[8:9] op_sel:[0,0,1] op_sel_hi:[1,0,0]
	v_pk_fma_f32 v[48:49], v[42:43], s[6:7], v[8:9] op_sel:[0,0,1] op_sel_hi:[1,0,0] neg_lo:[0,0,1] neg_hi:[0,0,1]
	s_mov_b32 s8, 0x3dbcf732
	v_pk_mul_f32 v[8:9], v[76:77], s[10:11] op_sel_hi:[1,0]
	s_mov_b32 s22, 0xbf65296c
	v_pk_fma_f32 v[34:35], v[72:73], s[8:9], v[8:9] op_sel:[0,0,1] op_sel_hi:[1,0,0]
	v_pk_fma_f32 v[50:51], v[72:73], s[8:9], v[8:9] op_sel:[0,0,1] op_sel_hi:[1,0,0] neg_lo:[0,0,1] neg_hi:[0,0,1]
	s_mov_b32 s20, 0xbf4c4adb
	v_mov_b32_e32 v69, v33
	v_mov_b32_e32 v33, v49
	s_mov_b32 s0, 0x3ee437d1
	v_pk_mul_f32 v[8:9], v[60:61], s[22:23] op_sel_hi:[1,0]
	s_mov_b32 s16, 0xbf1a4643
	v_pk_mul_f32 v[10:11], v[76:77], s[20:21] op_sel_hi:[1,0]
	v_pk_add_f32 v[32:33], v[32:33], v[0:1]
	v_accvgpr_write_b32 a1, v35
	v_mov_b32_e32 v35, v51
	v_pk_add_f32 v[32:33], v[34:35], v[32:33]
	v_pk_fma_f32 v[34:35], v[72:73], s[16:17], v[10:11] op_sel:[0,0,1] op_sel_hi:[1,0,0]
	v_pk_fma_f32 v[56:57], v[72:73], s[16:17], v[10:11] op_sel:[0,0,1] op_sel_hi:[1,0,0] neg_lo:[0,0,1] neg_hi:[0,0,1]
	v_pk_fma_f32 v[10:11], v[42:43], s[0:1], v[8:9] op_sel:[0,0,1] op_sel_hi:[1,0,0]
	v_pk_fma_f32 v[58:59], v[42:43], s[0:1], v[8:9] op_sel:[0,0,1] op_sel_hi:[1,0,0] neg_lo:[0,0,1] neg_hi:[0,0,1]
	v_mov_b32_e32 v8, v10
	v_mov_b32_e32 v9, v59
	;; [unrolled: 1-line block ×3, first 2 shown]
	v_pk_add_f32 v[8:9], v[8:9], v[0:1]
	v_mov_b32_e32 v10, v34
	v_mov_b32_e32 v11, v57
	v_pk_add_f32 v[110:111], v[30:31], v[36:37] neg_lo:[0,1] neg_hi:[0,1]
	v_pk_add_f32 v[8:9], v[10:11], v[8:9]
	v_pk_add_f32 v[108:109], v[36:37], v[30:31]
	v_pk_mul_f32 v[10:11], v[110:111], s[20:21] op_sel_hi:[1,0]
	v_mov_b32_e32 v49, v35
	v_pk_fma_f32 v[34:35], v[108:109], s[16:17], v[10:11] op_sel:[0,0,1] op_sel_hi:[1,0,0]
	v_pk_fma_f32 v[66:67], v[108:109], s[16:17], v[10:11] op_sel:[0,0,1] op_sel_hi:[1,0,0] neg_lo:[0,0,1] neg_hi:[0,0,1]
	v_mov_b32_e32 v10, v34
	v_mov_b32_e32 v11, v67
	s_mov_b32 s26, 0x3e3c28d5
	v_pk_add_f32 v[10:11], v[10:11], v[32:33]
	s_mov_b32 s24, 0xbf7ba420
	v_pk_mul_f32 v[32:33], v[110:111], s[26:27] op_sel_hi:[1,0]
	v_accvgpr_write_b32 a3, v35
	v_pk_fma_f32 v[34:35], v[108:109], s[24:25], v[32:33] op_sel:[0,0,1] op_sel_hi:[1,0,0]
	v_pk_fma_f32 v[62:63], v[108:109], s[24:25], v[32:33] op_sel:[0,0,1] op_sel_hi:[1,0,0] neg_lo:[0,0,1] neg_hi:[0,0,1]
	v_mov_b32_e32 v32, v34
	v_mov_b32_e32 v33, v63
	s_mov_b32 s26, 0xbe3c28d5
	v_pk_add_f32 v[122:123], v[20:21], v[26:27] neg_lo:[0,1] neg_hi:[0,1]
	v_pk_add_f32 v[8:9], v[32:33], v[8:9]
	v_pk_add_f32 v[120:121], v[26:27], v[20:21]
	v_pk_mul_f32 v[32:33], v[122:123], s[26:27] op_sel:[1,0] op_sel_hi:[0,0]
	v_mov_b32_e32 v67, v35
	v_pk_fma_f32 v[34:35], v[120:121], s[24:25], v[32:33] op_sel_hi:[1,0,1]
	v_pk_fma_f32 v[88:89], v[120:121], s[24:25], v[32:33] op_sel_hi:[1,0,1] neg_lo:[0,0,1] neg_hi:[0,0,1]
	v_mov_b32_e32 v32, v34
	v_mov_b32_e32 v33, v89
	s_mov_b32 s36, 0x3f763a35
	v_pk_add_f32 v[10:11], v[32:33], v[10:11]
	s_mov_b32 s28, 0xbe8c1d8e
	v_pk_mul_f32 v[32:33], v[122:123], s[36:37] op_sel:[1,0] op_sel_hi:[0,0]
	v_accvgpr_write_b32 a7, v35
	v_pk_fma_f32 v[34:35], v[120:121], s[28:29], v[32:33] op_sel_hi:[1,0,1]
	v_pk_fma_f32 v[80:81], v[120:121], s[28:29], v[32:33] op_sel_hi:[1,0,1] neg_lo:[0,0,1] neg_hi:[0,0,1]
	v_mov_b32_e32 v32, v34
	v_mov_b32_e32 v33, v81
	s_mov_b32 s48, 0x3f06c442
	v_pk_add_f32 v[148:149], v[22:23], v[24:25] neg_lo:[0,1] neg_hi:[0,1]
	v_pk_add_f32 v[8:9], v[32:33], v[8:9]
	s_mov_b32 s30, 0xbf59a7d5
	v_pk_add_f32 v[146:147], v[24:25], v[22:23]
	v_pk_mul_f32 v[32:33], v[148:149], s[48:49] op_sel:[1,0] op_sel_hi:[0,0]
	v_accvgpr_write_b32 a5, v35
	v_pk_fma_f32 v[34:35], v[146:147], s[30:31], v[32:33] op_sel_hi:[1,0,1]
	v_pk_fma_f32 v[98:99], v[146:147], s[30:31], v[32:33] op_sel_hi:[1,0,1] neg_lo:[0,0,1] neg_hi:[0,0,1]
	v_mov_b32_e32 v32, v34
	v_mov_b32_e32 v33, v99
	s_mov_b32 s34, 0x3f2c7751
	v_pk_add_f32 v[10:11], v[32:33], v[10:11]
	v_pk_mul_f32 v[32:33], v[148:149], s[34:35] op_sel:[1,0] op_sel_hi:[0,0]
	v_mov_b32_e32 v81, v35
	v_pk_fma_f32 v[34:35], v[146:147], s[6:7], v[32:33] op_sel_hi:[1,0,1]
	v_pk_fma_f32 v[94:95], v[146:147], s[6:7], v[32:33] op_sel_hi:[1,0,1] neg_lo:[0,0,1] neg_hi:[0,0,1]
	v_mov_b32_e32 v32, v34
	v_mov_b32_e32 v33, v95
	v_pk_add_f32 v[182:183], v[12:13], v[18:19] neg_lo:[0,1] neg_hi:[0,1]
	v_pk_add_f32 v[8:9], v[32:33], v[8:9]
	v_pk_add_f32 v[178:179], v[18:19], v[12:13]
	v_pk_mul_f32 v[32:33], v[182:183], s[36:37] op_sel:[1,0] op_sel_hi:[0,0]
	v_accvgpr_write_b32 a9, v35
	v_pk_fma_f32 v[34:35], v[178:179], s[28:29], v[32:33] op_sel_hi:[1,0,1]
	v_pk_fma_f32 v[106:107], v[178:179], s[28:29], v[32:33] op_sel_hi:[1,0,1] neg_lo:[0,0,1] neg_hi:[0,0,1]
	v_mov_b32_e32 v32, v34
	v_mov_b32_e32 v33, v107
	s_mov_b32 s42, 0xbeb8f4ab
	v_pk_add_f32 v[10:11], v[32:33], v[10:11]
	s_mov_b32 s38, 0x3f6eb680
	v_pk_mul_f32 v[32:33], v[182:183], s[42:43] op_sel:[1,0] op_sel_hi:[0,0]
	v_mov_b32_e32 v95, v35
	v_pk_fma_f32 v[34:35], v[178:179], s[38:39], v[32:33] op_sel_hi:[1,0,1]
	v_pk_fma_f32 v[102:103], v[178:179], s[38:39], v[32:33] op_sel_hi:[1,0,1] neg_lo:[0,0,1] neg_hi:[0,0,1]
	v_mov_b32_e32 v32, v34
	v_mov_b32_e32 v33, v103
	s_mov_b32 s40, 0x3f65296c
	v_pk_add_f32 v[198:199], v[14:15], v[16:17] neg_lo:[0,1] neg_hi:[0,1]
	v_pk_add_f32 v[8:9], v[32:33], v[8:9]
	v_pk_add_f32 v[196:197], v[16:17], v[14:15]
	v_pk_mul_f32 v[32:33], v[198:199], s[40:41] op_sel:[1,0] op_sel_hi:[0,0]
	v_accvgpr_write_b32 a11, v35
	v_pk_fma_f32 v[34:35], v[196:197], s[0:1], v[32:33] op_sel_hi:[1,0,1]
	v_pk_fma_f32 v[118:119], v[196:197], s[0:1], v[32:33] op_sel_hi:[1,0,1] neg_lo:[0,0,1] neg_hi:[0,0,1]
	v_mov_b32_e32 v32, v34
	v_mov_b32_e32 v33, v119
	v_pk_add_f32 v[10:11], v[32:33], v[10:11]
	v_pk_mul_f32 v[32:33], v[198:199], s[10:11] op_sel:[1,0] op_sel_hi:[0,0]
	v_mov_b32_e32 v103, v35
	v_pk_fma_f32 v[34:35], v[196:197], s[8:9], v[32:33] op_sel_hi:[1,0,1]
	v_pk_fma_f32 v[114:115], v[196:197], s[8:9], v[32:33] op_sel_hi:[1,0,1] neg_lo:[0,0,1] neg_hi:[0,0,1]
	v_mov_b32_e32 v32, v34
	v_mov_b32_e32 v33, v115
	s_mov_b32 s52, 0x3eb8f4ab
	v_pk_add_f32 v[190:191], v[4:5], v[6:7] neg_lo:[0,1] neg_hi:[0,1]
	v_pk_add_f32 v[8:9], v[32:33], v[8:9]
	v_pk_add_f32 v[186:187], v[6:7], v[4:5]
	v_pk_mul_f32 v[32:33], v[190:191], s[52:53] op_sel:[1,0] op_sel_hi:[0,0]
	v_pk_fma_f32 v[140:141], v[186:187], s[38:39], v[32:33] op_sel_hi:[1,0,1]
	v_pk_fma_f32 v[142:143], v[186:187], s[38:39], v[32:33] op_sel_hi:[1,0,1] neg_lo:[0,0,1] neg_hi:[0,0,1]
	s_mov_b32 s44, 0xbf06c442
	v_mov_b32_e32 v32, v140
	v_mov_b32_e32 v33, v143
	v_pk_add_f32 v[10:11], v[32:33], v[10:11]
	v_pk_mul_f32 v[32:33], v[190:191], s[44:45] op_sel:[1,0] op_sel_hi:[0,0]
	v_pk_fma_f32 v[128:129], v[186:187], s[30:31], v[32:33] op_sel_hi:[1,0,1]
	v_pk_fma_f32 v[130:131], v[186:187], s[30:31], v[32:33] op_sel_hi:[1,0,1] neg_lo:[0,0,1] neg_hi:[0,0,1]
	v_mov_b32_e32 v32, v128
	v_mov_b32_e32 v33, v131
	v_pk_add_f32 v[8:9], v[32:33], v[8:9]
	v_pk_mul_f32 v[32:33], v[60:61], s[10:11] op_sel_hi:[1,0]
	v_accvgpr_write_b32 a13, v35
	v_pk_fma_f32 v[188:189], v[42:43], s[8:9], v[32:33] op_sel:[0,0,1] op_sel_hi:[1,0,0]
	v_pk_fma_f32 v[124:125], v[42:43], s[8:9], v[32:33] op_sel:[0,0,1] op_sel_hi:[1,0,0] neg_lo:[0,0,1] neg_hi:[0,0,1]
	v_pk_mul_f32 v[34:35], v[76:77], s[26:27] op_sel_hi:[1,0]
	v_mov_b32_e32 v32, v188
	v_mov_b32_e32 v33, v125
	v_pk_fma_f32 v[192:193], v[72:73], s[24:25], v[34:35] op_sel:[0,0,1] op_sel_hi:[1,0,0]
	v_pk_fma_f32 v[132:133], v[72:73], s[24:25], v[34:35] op_sel:[0,0,1] op_sel_hi:[1,0,0] neg_lo:[0,0,1] neg_hi:[0,0,1]
	v_mov_b32_e32 v34, v192
	v_mov_b32_e32 v35, v133
	v_pk_add_f32 v[32:33], v[32:33], v[0:1]
	s_mov_b32 s46, 0xbf763a35
	v_pk_add_f32 v[32:33], v[34:35], v[32:33]
	v_pk_mul_f32 v[34:35], v[110:111], s[36:37] op_sel_hi:[1,0]
	v_pk_mul_f32 v[44:45], v[76:77], s[48:49] op_sel_hi:[1,0]
	v_pk_fma_f32 v[194:195], v[108:109], s[28:29], v[34:35] op_sel:[0,0,1] op_sel_hi:[1,0,0]
	v_pk_fma_f32 v[136:137], v[108:109], s[28:29], v[34:35] op_sel:[0,0,1] op_sel_hi:[1,0,0] neg_lo:[0,0,1] neg_hi:[0,0,1]
	v_mov_b32_e32 v34, v194
	v_mov_b32_e32 v35, v137
	v_pk_add_f32 v[32:33], v[34:35], v[32:33]
	v_pk_mul_f32 v[34:35], v[60:61], s[46:47] op_sel_hi:[1,0]
	v_pk_fma_f32 v[204:205], v[72:73], s[30:31], v[44:45] op_sel:[0,0,1] op_sel_hi:[1,0,0]
	v_pk_fma_f32 v[200:201], v[42:43], s[28:29], v[34:35] op_sel:[0,0,1] op_sel_hi:[1,0,0]
	v_pk_fma_f32 v[126:127], v[42:43], s[28:29], v[34:35] op_sel:[0,0,1] op_sel_hi:[1,0,0] neg_lo:[0,0,1] neg_hi:[0,0,1]
	v_mov_b32_e32 v34, v200
	v_mov_b32_e32 v35, v127
	v_pk_fma_f32 v[134:135], v[72:73], s[30:31], v[44:45] op_sel:[0,0,1] op_sel_hi:[1,0,0] neg_lo:[0,0,1] neg_hi:[0,0,1]
	v_mov_b32_e32 v44, v204
	v_mov_b32_e32 v45, v135
	v_pk_add_f32 v[34:35], v[34:35], v[0:1]
	s_mov_b32 s50, 0x3f7ee86f
	v_pk_add_f32 v[34:35], v[44:45], v[34:35]
	v_pk_mul_f32 v[44:45], v[110:111], s[34:35] op_sel_hi:[1,0]
	s_mov_b32 s48, 0x3f4c4adb
	v_pk_fma_f32 v[206:207], v[108:109], s[6:7], v[44:45] op_sel:[0,0,1] op_sel_hi:[1,0,0]
	v_pk_fma_f32 v[138:139], v[108:109], s[6:7], v[44:45] op_sel:[0,0,1] op_sel_hi:[1,0,0] neg_lo:[0,0,1] neg_hi:[0,0,1]
	v_mov_b32_e32 v44, v206
	v_mov_b32_e32 v45, v139
	v_pk_add_f32 v[34:35], v[44:45], v[34:35]
	v_pk_mul_f32 v[44:45], v[122:123], s[52:53] op_sel:[1,0] op_sel_hi:[0,0]
	v_pk_fma_f32 v[202:203], v[120:121], s[38:39], v[44:45] op_sel_hi:[1,0,1]
	v_pk_fma_f32 v[152:153], v[120:121], s[38:39], v[44:45] op_sel_hi:[1,0,1] neg_lo:[0,0,1] neg_hi:[0,0,1]
	v_mov_b32_e32 v44, v202
	v_mov_b32_e32 v45, v153
	v_pk_add_f32 v[32:33], v[44:45], v[32:33]
	v_pk_mul_f32 v[44:45], v[122:123], s[22:23] op_sel:[1,0] op_sel_hi:[0,0]
	v_pk_fma_f32 v[208:209], v[120:121], s[0:1], v[44:45] op_sel_hi:[1,0,1]
	v_pk_fma_f32 v[144:145], v[120:121], s[0:1], v[44:45] op_sel_hi:[1,0,1] neg_lo:[0,0,1] neg_hi:[0,0,1]
	;; [unrolled: 6-line block ×10, first 2 shown]
	v_mov_b32_e32 v32, v170
	v_mov_b32_e32 v33, v173
	v_pk_add_f32 v[32:33], v[32:33], v[44:45]
	v_pk_mul_f32 v[44:45], v[60:61], s[26:27] op_sel_hi:[1,0]
	v_pk_mul_f32 v[54:55], v[76:77], s[52:53] op_sel_hi:[1,0]
	v_pk_fma_f32 v[46:47], v[42:43], s[24:25], v[44:45] op_sel:[0,0,1] op_sel_hi:[1,0,0]
	v_pk_fma_f32 v[44:45], v[42:43], s[24:25], v[44:45] op_sel:[0,0,1] op_sel_hi:[1,0,0] neg_lo:[0,0,1] neg_hi:[0,0,1]
	v_mov_b32_e32 v52, v46
	v_mov_b32_e32 v53, v45
	v_pk_fma_f32 v[64:65], v[72:73], s[38:39], v[54:55] op_sel:[0,0,1] op_sel_hi:[1,0,0]
	v_pk_fma_f32 v[54:55], v[72:73], s[38:39], v[54:55] op_sel:[0,0,1] op_sel_hi:[1,0,0] neg_lo:[0,0,1] neg_hi:[0,0,1]
	v_mov_b32_e32 v70, v64
	v_mov_b32_e32 v71, v55
	v_pk_add_f32 v[52:53], v[52:53], v[0:1]
	v_mov_b32_e32 v45, v47
	v_pk_add_f32 v[52:53], v[70:71], v[52:53]
	v_pk_mul_f32 v[70:71], v[110:111], s[44:45] op_sel_hi:[1,0]
	v_mov_b32_e32 v55, v65
	v_pk_fma_f32 v[74:75], v[108:109], s[30:31], v[70:71] op_sel:[0,0,1] op_sel_hi:[1,0,0]
	v_pk_fma_f32 v[70:71], v[108:109], s[30:31], v[70:71] op_sel:[0,0,1] op_sel_hi:[1,0,0] neg_lo:[0,0,1] neg_hi:[0,0,1]
	v_mov_b32_e32 v78, v74
	v_mov_b32_e32 v79, v71
	v_pk_add_f32 v[52:53], v[78:79], v[52:53]
	v_pk_mul_f32 v[78:79], v[122:123], s[34:35] op_sel:[1,0] op_sel_hi:[0,0]
	v_pk_fma_f32 v[82:83], v[120:121], s[6:7], v[78:79] op_sel_hi:[1,0,1]
	v_pk_fma_f32 v[78:79], v[120:121], s[6:7], v[78:79] op_sel_hi:[1,0,1] neg_lo:[0,0,1] neg_hi:[0,0,1]
	v_mov_b32_e32 v84, v82
	v_mov_b32_e32 v85, v79
	v_pk_add_f32 v[52:53], v[84:85], v[52:53]
	v_pk_mul_f32 v[84:85], v[148:149], s[20:21] op_sel:[1,0] op_sel_hi:[0,0]
	v_pk_fma_f32 v[86:87], v[146:147], s[16:17], v[84:85] op_sel_hi:[1,0,1]
	v_pk_fma_f32 v[84:85], v[146:147], s[16:17], v[84:85] op_sel_hi:[1,0,1] neg_lo:[0,0,1] neg_hi:[0,0,1]
	;; [unrolled: 6-line block ×4, first 2 shown]
	v_pk_add_f32 v[44:45], v[44:45], v[0:1]
	v_pk_mul_f32 v[46:47], v[190:191], s[50:51] op_sel:[1,0] op_sel_hi:[0,0]
	v_mov_b32_e32 v104, v100
	v_mov_b32_e32 v105, v97
	v_pk_add_f32 v[44:45], v[54:55], v[44:45]
	v_pk_fma_f32 v[54:55], v[186:187], s[8:9], v[46:47] op_sel_hi:[1,0,1] neg_lo:[0,0,1] neg_hi:[0,0,1]
	v_pk_fma_f32 v[46:47], v[186:187], s[8:9], v[46:47] op_sel_hi:[1,0,1]
	v_pk_add_f32 v[52:53], v[104:105], v[52:53]
	v_mov_b32_e32 v65, v47
	v_mov_b32_e32 v47, v55
	v_pk_add_f32 v[46:47], v[46:47], v[52:53]
	v_pk_mul_f32 v[52:53], v[60:61], s[42:43] op_sel_hi:[1,0]
	v_mov_b32_e32 v64, v54
	v_pk_fma_f32 v[254:255], v[42:43], s[38:39], v[52:53] op_sel:[0,0,1] op_sel_hi:[1,0,0]
	v_pk_fma_f32 v[240:241], v[42:43], s[38:39], v[52:53] op_sel:[0,0,1] op_sel_hi:[1,0,0] neg_lo:[0,0,1] neg_hi:[0,0,1]
	v_pk_mul_f32 v[54:55], v[76:77], s[18:19] op_sel_hi:[1,0]
	v_mov_b32_e32 v52, v254
	v_mov_b32_e32 v53, v241
	v_pk_fma_f32 v[242:243], v[72:73], s[6:7], v[54:55] op_sel:[0,0,1] op_sel_hi:[1,0,0]
	v_pk_fma_f32 v[244:245], v[72:73], s[6:7], v[54:55] op_sel:[0,0,1] op_sel_hi:[1,0,0] neg_lo:[0,0,1] neg_hi:[0,0,1]
	v_pk_add_f32 v[52:53], v[52:53], v[0:1]
	v_mov_b32_e32 v54, v242
	v_mov_b32_e32 v55, v245
	v_pk_add_f32 v[52:53], v[54:55], v[52:53]
	v_pk_mul_f32 v[54:55], v[110:111], s[22:23] op_sel_hi:[1,0]
	v_mov_b32_e32 v71, v75
	v_pk_fma_f32 v[246:247], v[108:109], s[0:1], v[54:55] op_sel:[0,0,1] op_sel_hi:[1,0,0]
	v_pk_fma_f32 v[248:249], v[108:109], s[0:1], v[54:55] op_sel:[0,0,1] op_sel_hi:[1,0,0] neg_lo:[0,0,1] neg_hi:[0,0,1]
	v_mov_b32_e32 v79, v83
	v_pk_add_f32 v[44:45], v[70:71], v[44:45]
	v_mov_b32_e32 v54, v246
	v_mov_b32_e32 v55, v249
	;; [unrolled: 1-line block ×3, first 2 shown]
	v_pk_add_f32 v[44:45], v[78:79], v[44:45]
	v_pk_add_f32 v[52:53], v[54:55], v[52:53]
	v_pk_mul_f32 v[54:55], v[122:123], s[10:11] op_sel:[1,0] op_sel_hi:[0,0]
	v_mov_b32_e32 v91, v93
	v_pk_add_f32 v[44:45], v[84:85], v[44:45]
	v_pk_fma_f32 v[250:251], v[120:121], s[8:9], v[54:55] op_sel_hi:[1,0,1]
	v_pk_fma_f32 v[252:253], v[120:121], s[8:9], v[54:55] op_sel_hi:[1,0,1] neg_lo:[0,0,1] neg_hi:[0,0,1]
	v_mov_b32_e32 v97, v101
	v_pk_add_f32 v[44:45], v[90:91], v[44:45]
	v_mov_b32_e32 v54, v250
	v_mov_b32_e32 v55, v253
	v_pk_add_f32 v[44:45], v[96:97], v[44:45]
	v_pk_add_f32 v[54:55], v[54:55], v[52:53]
	v_pk_mul_f32 v[52:53], v[60:61], s[20:21] op_sel_hi:[1,0]
	v_pk_add_f32 v[44:45], v[64:65], v[44:45]
	v_pk_fma_f32 v[90:91], v[42:43], s[16:17], v[52:53] op_sel:[0,0,1] op_sel_hi:[1,0,0]
	v_pk_fma_f32 v[212:213], v[42:43], s[16:17], v[52:53] op_sel:[0,0,1] op_sel_hi:[1,0,0] neg_lo:[0,0,1] neg_hi:[0,0,1]
	v_pk_mul_f32 v[64:65], v[76:77], s[36:37] op_sel_hi:[1,0]
	v_mov_b32_e32 v52, v90
	v_mov_b32_e32 v53, v213
	v_pk_fma_f32 v[92:93], v[72:73], s[28:29], v[64:65] op_sel:[0,0,1] op_sel_hi:[1,0,0]
	v_pk_fma_f32 v[214:215], v[72:73], s[28:29], v[64:65] op_sel:[0,0,1] op_sel_hi:[1,0,0] neg_lo:[0,0,1] neg_hi:[0,0,1]
	v_mov_b32_e32 v64, v92
	v_mov_b32_e32 v65, v215
	v_pk_add_f32 v[52:53], v[52:53], v[0:1]
	v_pk_mul_f32 v[70:71], v[148:149], s[46:47] op_sel:[1,0] op_sel_hi:[0,0]
	v_pk_add_f32 v[52:53], v[64:65], v[52:53]
	v_pk_mul_f32 v[64:65], v[110:111], s[42:43] op_sel_hi:[1,0]
	v_pk_mul_f32 v[60:61], v[60:61], s[44:45] op_sel_hi:[1,0]
	v_pk_fma_f32 v[96:97], v[108:109], s[38:39], v[64:65] op_sel:[0,0,1] op_sel_hi:[1,0,0]
	v_pk_fma_f32 v[216:217], v[108:109], s[38:39], v[64:65] op_sel:[0,0,1] op_sel_hi:[1,0,0] neg_lo:[0,0,1] neg_hi:[0,0,1]
	v_mov_b32_e32 v64, v96
	v_mov_b32_e32 v65, v217
	v_pk_add_f32 v[52:53], v[64:65], v[52:53]
	v_pk_mul_f32 v[64:65], v[122:123], s[44:45] op_sel:[1,0] op_sel_hi:[0,0]
	v_pk_fma_f32 v[100:101], v[120:121], s[30:31], v[64:65] op_sel_hi:[1,0,1]
	v_pk_fma_f32 v[218:219], v[120:121], s[30:31], v[64:65] op_sel_hi:[1,0,1] neg_lo:[0,0,1] neg_hi:[0,0,1]
	v_mov_b32_e32 v64, v100
	v_mov_b32_e32 v65, v219
	v_pk_add_f32 v[64:65], v[64:65], v[52:53]
	v_pk_fma_f32 v[52:53], v[146:147], s[28:29], v[70:71] op_sel_hi:[1,0,1]
	v_pk_fma_f32 v[70:71], v[146:147], s[28:29], v[70:71] op_sel_hi:[1,0,1] neg_lo:[0,0,1] neg_hi:[0,0,1]
	v_mov_b32_e32 v74, v52
	v_mov_b32_e32 v75, v71
	v_pk_add_f32 v[74:75], v[74:75], v[54:55]
	v_pk_mul_f32 v[54:55], v[148:149], s[50:51] op_sel:[1,0] op_sel_hi:[0,0]
	v_pk_fma_f32 v[104:105], v[146:147], s[8:9], v[54:55] op_sel_hi:[1,0,1]
	v_pk_fma_f32 v[220:221], v[146:147], s[8:9], v[54:55] op_sel_hi:[1,0,1] neg_lo:[0,0,1] neg_hi:[0,0,1]
	v_mov_b32_e32 v54, v104
	v_mov_b32_e32 v55, v221
	v_pk_add_f32 v[78:79], v[54:55], v[64:65]
	v_pk_mul_f32 v[54:55], v[182:183], s[20:21] op_sel:[1,0] op_sel_hi:[0,0]
	;; [unrolled: 6-line block ×6, first 2 shown]
	v_pk_fma_f32 v[86:87], v[186:187], s[24:25], v[84:85] op_sel_hi:[1,0,1]
	v_pk_fma_f32 v[84:85], v[186:187], s[24:25], v[84:85] op_sel_hi:[1,0,1] neg_lo:[0,0,1] neg_hi:[0,0,1]
	v_mov_b32_e32 v228, v86
	v_mov_b32_e32 v229, v85
	v_pk_add_f32 v[74:75], v[228:229], v[74:75]
	v_pk_fma_f32 v[228:229], v[42:43], s[30:31], v[60:61] op_sel:[0,0,1] op_sel_hi:[1,0,0]
	v_pk_fma_f32 v[238:239], v[42:43], s[30:31], v[60:61] op_sel:[0,0,1] op_sel_hi:[1,0,0] neg_lo:[0,0,1] neg_hi:[0,0,1]
	v_pk_mul_f32 v[42:43], v[76:77], s[40:41] op_sel_hi:[1,0]
	v_accvgpr_read_b32 v180, a0
	v_pk_fma_f32 v[76:77], v[72:73], s[0:1], v[42:43] op_sel:[0,0,1] op_sel_hi:[1,0,0]
	v_pk_fma_f32 v[236:237], v[72:73], s[0:1], v[42:43] op_sel:[0,0,1] op_sel_hi:[1,0,0] neg_lo:[0,0,1] neg_hi:[0,0,1]
	v_pk_mul_f32 v[42:43], v[110:111], s[10:11] op_sel_hi:[1,0]
	v_mov_b32_e32 v60, v76
	v_pk_fma_f32 v[72:73], v[108:109], s[8:9], v[42:43] op_sel:[0,0,1] op_sel_hi:[1,0,0]
	v_pk_fma_f32 v[234:235], v[108:109], s[8:9], v[42:43] op_sel:[0,0,1] op_sel_hi:[1,0,0] neg_lo:[0,0,1] neg_hi:[0,0,1]
	v_pk_mul_f32 v[42:43], v[122:123], s[48:49] op_sel:[1,0] op_sel_hi:[0,0]
	v_pk_fma_f32 v[108:109], v[120:121], s[16:17], v[42:43] op_sel_hi:[1,0,1]
	v_pk_fma_f32 v[232:233], v[120:121], s[16:17], v[42:43] op_sel_hi:[1,0,1] neg_lo:[0,0,1] neg_hi:[0,0,1]
	v_pk_mul_f32 v[42:43], v[148:149], s[42:43] op_sel:[1,0] op_sel_hi:[0,0]
	v_pk_fma_f32 v[110:111], v[146:147], s[38:39], v[42:43] op_sel_hi:[1,0,1]
	v_pk_fma_f32 v[230:231], v[146:147], s[38:39], v[42:43] op_sel_hi:[1,0,1] neg_lo:[0,0,1] neg_hi:[0,0,1]
	;; [unrolled: 3-line block ×4, first 2 shown]
	v_mov_b32_e32 v42, v228
	v_mov_b32_e32 v43, v239
	;; [unrolled: 1-line block ×3, first 2 shown]
	v_pk_add_f32 v[42:43], v[42:43], v[0:1]
	v_mul_lo_u16_e32 v154, 17, v180
	v_pk_add_f32 v[42:43], v[60:61], v[42:43]
	v_mov_b32_e32 v60, v72
	v_mov_b32_e32 v61, v235
	v_pk_add_f32 v[42:43], v[60:61], v[42:43]
	v_mov_b32_e32 v60, v108
	v_mov_b32_e32 v61, v233
	;; [unrolled: 3-line block ×5, first 2 shown]
	v_pk_add_f32 v[42:43], v[60:61], v[42:43]
	v_pk_mul_f32 v[60:61], v[190:191], s[40:41] op_sel:[1,0] op_sel_hi:[0,0]
	v_pk_fma_f32 v[196:197], v[186:187], s[0:1], v[60:61] op_sel_hi:[1,0,1]
	v_pk_fma_f32 v[198:199], v[186:187], s[0:1], v[60:61] op_sel_hi:[1,0,1] neg_lo:[0,0,1] neg_hi:[0,0,1]
	v_pk_mul_f32 v[60:61], v[190:191], s[46:47] op_sel:[1,0] op_sel_hi:[0,0]
	v_pk_fma_f32 v[178:179], v[186:187], s[28:29], v[60:61] op_sel_hi:[1,0,1]
	v_pk_fma_f32 v[182:183], v[186:187], s[28:29], v[60:61] op_sel_hi:[1,0,1] neg_lo:[0,0,1] neg_hi:[0,0,1]
	v_mov_b32_e32 v60, v178
	v_mov_b32_e32 v61, v183
	v_pk_add_f32 v[60:61], v[60:61], v[42:43]
	v_mov_b32_e32 v42, v196
	v_mov_b32_e32 v43, v199
	v_pk_add_f32 v[42:43], v[42:43], v[116:117]
	s_barrier
	s_and_saveexec_b64 s[0:1], vcc
	s_cbranch_execz .LBB0_7
; %bb.6:
	v_pk_add_f32 v[2:3], v[2:3], v[0:1]
	v_mov_b32_e32 v241, v255
	v_pk_add_f32 v[2:3], v[28:29], v[2:3]
	v_mov_b32_e32 v245, v243
	;; [unrolled: 2-line block ×7, first 2 shown]
	v_pk_add_f32 v[2:3], v[4:5], v[2:3]
	v_pk_add_f32 v[4:5], v[240:241], v[0:1]
	v_pk_add_f32 v[2:3], v[6:7], v[2:3]
	v_pk_add_f32 v[4:5], v[244:245], v[4:5]
	v_pk_add_f32 v[2:3], v[16:17], v[2:3]
	v_pk_add_f32 v[4:5], v[248:249], v[4:5]
	v_pk_add_f32 v[2:3], v[18:19], v[2:3]
	v_pk_add_f32 v[4:5], v[252:253], v[4:5]
	v_pk_add_f32 v[2:3], v[24:25], v[2:3]
	v_pk_add_f32 v[4:5], v[70:71], v[4:5]
	v_pk_add_f32 v[2:3], v[26:27], v[2:3]
	v_pk_add_f32 v[4:5], v[54:55], v[4:5]
	v_pk_add_f32 v[2:3], v[36:37], v[2:3]
	v_pk_add_f32 v[4:5], v[78:79], v[4:5]
	v_pk_add_f32 v[2:3], v[38:39], v[2:3]
	v_mov_b32_e32 v85, v87
	v_mov_b32_e32 v59, v51
	;; [unrolled: 1-line block ×4, first 2 shown]
	v_lshlrev_b32_e32 v20, 3, v154
	v_pk_add_f32 v[2:3], v[40:41], v[2:3]
	v_pk_add_f32 v[4:5], v[84:85], v[4:5]
	v_accvgpr_read_b32 v51, a1
	ds_write2_b64 v20, v[2:3], v[4:5] offset1:1
	v_pk_add_f32 v[2:3], v[48:49], v[0:1]
	v_pk_add_f32 v[4:5], v[58:59], v[0:1]
	v_mov_b32_e32 v63, v67
	v_pk_add_f32 v[2:3], v[50:51], v[2:3]
	v_accvgpr_read_b32 v67, a3
	v_pk_add_f32 v[4:5], v[56:57], v[4:5]
	v_pk_add_f32 v[2:3], v[66:67], v[2:3]
	v_accvgpr_read_b32 v89, a7
	v_mov_b32_e32 v99, v81
	v_pk_add_f32 v[4:5], v[62:63], v[4:5]
	v_accvgpr_read_b32 v81, a5
	v_pk_add_f32 v[2:3], v[88:89], v[2:3]
	v_mov_b32_e32 v107, v95
	v_pk_add_f32 v[4:5], v[80:81], v[4:5]
	v_accvgpr_read_b32 v95, a9
	v_pk_add_f32 v[2:3], v[98:99], v[2:3]
	;; [unrolled: 4-line block ×3, first 2 shown]
	v_pk_add_f32 v[4:5], v[102:103], v[4:5]
	v_accvgpr_read_b32 v115, a13
	v_pk_add_f32 v[2:3], v[118:119], v[2:3]
	v_mov_b32_e32 v143, v141
	v_pk_add_f32 v[4:5], v[114:115], v[4:5]
	v_mov_b32_e32 v131, v129
	v_mov_b32_e32 v127, v201
	v_mov_b32_e32 v125, v189
	v_pk_add_f32 v[2:3], v[142:143], v[2:3]
	v_pk_add_f32 v[4:5], v[130:131], v[4:5]
	v_mov_b32_e32 v135, v205
	v_mov_b32_e32 v133, v193
	ds_write2_b64 v20, v[2:3], v[4:5] offset0:2 offset1:3
	v_pk_add_f32 v[2:3], v[124:125], v[0:1]
	v_pk_add_f32 v[4:5], v[126:127], v[0:1]
	v_mov_b32_e32 v139, v207
	v_mov_b32_e32 v137, v195
	v_pk_add_f32 v[2:3], v[132:133], v[2:3]
	v_pk_add_f32 v[4:5], v[134:135], v[4:5]
	v_mov_b32_e32 v145, v209
	v_mov_b32_e32 v153, v203
	v_pk_add_f32 v[2:3], v[136:137], v[2:3]
	v_pk_add_f32 v[4:5], v[138:139], v[4:5]
	v_mov_b32_e32 v151, v211
	v_pk_add_f32 v[2:3], v[152:153], v[2:3]
	v_mov_b32_e32 v161, v155
	v_pk_add_f32 v[4:5], v[144:145], v[4:5]
	v_pk_add_f32 v[2:3], v[160:161], v[2:3]
	v_mov_b32_e32 v165, v163
	v_pk_add_f32 v[4:5], v[150:151], v[4:5]
	v_mov_b32_e32 v159, v157
	;; [unrolled: 2-line block ×6, first 2 shown]
	v_mov_b32_e32 v213, v91
	v_pk_add_f32 v[2:3], v[184:185], v[2:3]
	v_pk_add_f32 v[4:5], v[172:173], v[4:5]
	v_mov_b32_e32 v239, v229
	v_mov_b32_e32 v215, v93
	ds_write2_b64 v20, v[2:3], v[4:5] offset0:4 offset1:5
	v_pk_add_f32 v[2:3], v[212:213], v[0:1]
	v_pk_add_f32 v[0:1], v[238:239], v[0:1]
	v_mov_b32_e32 v237, v77
	v_mov_b32_e32 v217, v97
	v_pk_add_f32 v[2:3], v[214:215], v[2:3]
	v_pk_add_f32 v[0:1], v[236:237], v[0:1]
	v_mov_b32_e32 v235, v73
	v_mov_b32_e32 v219, v101
	;; [unrolled: 4-line block ×4, first 2 shown]
	v_pk_add_f32 v[2:3], v[220:221], v[2:3]
	v_pk_add_f32 v[0:1], v[230:231], v[0:1]
	v_mov_b32_e32 v149, v121
	v_pk_add_f32 v[2:3], v[222:223], v[2:3]
	v_mov_b32_e32 v227, v225
	;; [unrolled: 2-line block ×5, first 2 shown]
	v_pk_add_f32 v[2:3], v[198:199], v[2:3]
	v_pk_add_f32 v[0:1], v[182:183], v[0:1]
	ds_write2_b64 v20, v[2:3], v[0:1] offset0:6 offset1:7
	ds_write2_b64 v20, v[44:45], v[46:47] offset0:8 offset1:9
	;; [unrolled: 1-line block ×5, first 2 shown]
	ds_write_b64 v20, v[74:75] offset:128
.LBB0_7:
	s_or_b64 exec, exec, s[0:1]
	s_movk_i32 s0, 0xf1
	v_mul_lo_u16_sdwa v0, v180, s0 dst_sel:DWORD dst_unused:UNUSED_PAD src0_sel:BYTE_0 src1_sel:DWORD
	v_lshrrev_b16_e32 v66, 12, v0
	v_mul_lo_u16_e32 v0, 17, v66
	v_sub_u16_e32 v0, v180, v0
	v_and_b32_e32 v67, 0xff, v0
	v_mad_u64_u32 v[16:17], s[0:1], v67, 56, s[4:5]
	s_load_dwordx4 s[8:11], s[2:3], 0x0
	s_waitcnt lgkmcnt(0)
	s_barrier
	global_load_dwordx4 v[12:15], v[16:17], off
	global_load_dwordx4 v[0:3], v[16:17], off offset:16
	global_load_dwordx4 v[4:7], v[16:17], off offset:32
	global_load_dwordx2 v[182:183], v[16:17], off offset:48
	v_add_u32_e32 v20, 0xa00, v68
	v_add_u32_e32 v28, 0x1600, v68
	;; [unrolled: 1-line block ×3, first 2 shown]
	ds_read2_b64 v[16:19], v68 offset1:187
	ds_read2_b64 v[20:23], v20 offset0:54 offset1:241
	ds_read2_b64 v[24:27], v24 offset0:34 offset1:221
	;; [unrolled: 1-line block ×3, first 2 shown]
	v_mov_b32_e32 v37, 0x3f3504f3
	s_movk_i32 s0, 0x88
	s_movk_i32 s2, 0x87
	s_waitcnt lgkmcnt(3)
	v_add_f32_e32 v39, v16, v16
	v_mov_b32_e32 v41, v16
	s_waitcnt lgkmcnt(1)
	v_mov_b32_e32 v50, v25
	s_waitcnt lgkmcnt(0)
	v_mov_b32_e32 v51, v28
	v_mov_b32_e32 v48, v17
	v_cmp_gt_u16_e64 s[0:1], s0, v180
	v_cmp_lt_u16_e64 s[2:3], s2, v180
	s_barrier
	s_waitcnt vmcnt(3)
	v_mul_f32_e32 v16, v19, v13
	v_mul_f32_e32 v53, v18, v13
	v_mul_f32_e32 v40, v20, v15
	s_waitcnt vmcnt(2)
	v_mul_f32_e32 v36, v23, v1
	v_mul_f32_e32 v38, v22, v1
	v_mul_f32_e32 v49, v28, v3
	;; [unrolled: 4-line block ×3, first 2 shown]
	s_waitcnt vmcnt(0)
	v_mul_f32_e32 v63, v27, v183
	v_mul_f32_e32 v64, v26, v183
	v_mov_b32_e32 v25, v29
	v_mov_b32_e32 v58, v7
	v_mov_b32_e32 v59, v3
	v_mul_f32_e32 v52, v20, v14
	v_mul_f32_e32 v54, v21, v15
	;; [unrolled: 1-line block ×3, first 2 shown]
	v_mov_b32_e32 v56, v6
	v_mov_b32_e32 v57, v2
	v_fma_f32 v65, v18, v12, -v16
	v_fmac_f32_e32 v53, v19, v12
	v_fmac_f32_e32 v40, v21, v14
	v_fma_f32 v21, v22, v0, -v36
	v_fmac_f32_e32 v38, v23, v0
	v_fmac_f32_e32 v49, v29, v2
	v_fma_f32 v16, v30, v4, -v62
	v_fmac_f32_e32 v55, v31, v4
	v_fma_f32 v29, v26, v182, -v63
	v_fmac_f32_e32 v64, v27, v182
	v_pk_mul_f32 v[18:19], v[24:25], v[58:59]
	v_sub_f32_e32 v30, v65, v16
	v_sub_f32_e32 v26, v38, v64
	;; [unrolled: 1-line block ×3, first 2 shown]
	v_pk_add_f32 v[16:17], v[52:53], v[54:55] neg_lo:[0,1] neg_hi:[0,1]
	v_pk_add_f32 v[22:23], v[20:21], v[28:29] neg_lo:[0,1] neg_hi:[0,1]
	v_pk_fma_f32 v[24:25], v[50:51], v[6:7], v[18:19]
	v_pk_fma_f32 v[18:19], v[50:51], v[56:57], v[18:19] neg_lo:[0,0,1] neg_hi:[0,0,1]
	v_fma_f32 v38, v38, 2.0, -v26
	v_sub_f32_e32 v69, v30, v26
	v_pk_add_f32 v[26:27], v[16:17], v[22:23] neg_lo:[0,1] neg_hi:[0,1]
	v_pk_add_f32 v[28:29], v[16:17], v[22:23]
	v_mov_b32_e32 v25, v19
	v_fma_f32 v31, v65, 2.0, -v30
	v_fma_f32 v28, v53, 2.0, -v17
	;; [unrolled: 1-line block ×5, first 2 shown]
	v_pk_add_f32 v[16:17], v[40:41], v[24:25] neg_lo:[0,1] neg_hi:[0,1]
	v_mov_b32_e32 v36, v49
	v_add_f32_e32 v20, v31, v31
	v_fma_f32 v52, v30, 2.0, -v69
	v_mov_b32_e32 v27, v29
	v_sub_f32_e32 v30, v31, v21
	v_sub_f32_e32 v31, v28, v38
	v_mov_b32_e32 v38, v17
	v_mul_f32_e32 v22, 0x3f3504f3, v69
	v_pk_add_f32 v[58:59], v[26:27], v[36:37]
	v_pk_mul_f32 v[26:27], v[26:27], v[36:37]
	v_pk_add_f32 v[36:37], v[38:39], v[16:17] neg_lo:[0,1] neg_hi:[0,1]
	v_mov_b32_e32 v18, v49
	v_add_f32_e32 v21, v28, v28
	v_mul_f32_e32 v29, 0x3f3504f3, v19
	v_mov_b32_e32 v19, v58
	v_pk_add_f32 v[50:51], v[36:37], v[22:23]
	v_pk_add_f32 v[22:23], v[36:37], v[22:23] neg_lo:[0,1] neg_hi:[0,1]
	v_pk_add_f32 v[20:21], v[20:21], v[30:31] neg_lo:[0,1] neg_hi:[0,1]
	v_mov_b32_e32 v24, v30
	v_pk_fma_f32 v[18:19], v[48:49], 2.0, v[18:19] op_sel_hi:[1,0,1] neg_lo:[0,0,1] neg_hi:[0,0,1]
	v_fma_f32 v28, v40, 2.0, -v16
	v_mov_b32_e32 v51, v23
	v_mov_b32_e32 v30, v27
	v_mul_f32_e32 v25, 0x3f3504f3, v52
	v_fma_f32 v16, v17, 2.0, -v36
	v_pk_add_f32 v[54:55], v[18:19], v[28:29] neg_lo:[0,1] neg_hi:[0,1]
	v_pk_add_f32 v[64:65], v[50:51], v[30:31] neg_lo:[0,1] neg_hi:[0,1]
	v_fmamk_f32 v22, v52, 0xbf3504f3, v16
	v_mov_b32_e32 v56, v23
	v_pk_add_f32 v[62:63], v[54:55], v[24:25]
	v_add_f32_e32 v23, v36, v36
	v_mov_b32_e32 v24, v29
	v_mov_b32_e32 v25, v64
	;; [unrolled: 1-line block ×5, first 2 shown]
	v_pk_add_f32 v[54:55], v[22:23], v[24:25] neg_lo:[0,1] neg_hi:[0,1]
	v_add_f32_e32 v41, v58, v27
	v_pk_fma_f32 v[38:39], v[38:39], 2.0, v[56:57] op_sel_hi:[1,0,1] neg_lo:[0,0,1] neg_hi:[0,0,1]
	v_mov_b32_e32 v17, v19
	v_mov_b32_e32 v18, v54
	;; [unrolled: 1-line block ×3, first 2 shown]
	v_pk_add_f32 v[52:53], v[38:39], v[20:21] neg_lo:[0,1] neg_hi:[0,1]
	v_mov_b32_e32 v20, v65
	v_mov_b32_e32 v21, v62
	v_fmac_f32_e32 v41, 0x3f3504f3, v69
	v_pk_fma_f32 v[50:51], v[16:17], 2.0, v[18:19] op_sel_hi:[1,0,1] neg_lo:[0,0,1] neg_hi:[0,0,1]
	v_mul_u32_u24_e32 v16, 0x88, v66
	v_pk_fma_f32 v[48:49], v[38:39], 2.0, v[52:53] op_sel_hi:[1,0,1] neg_lo:[0,0,1] neg_hi:[0,0,1]
	v_pk_fma_f32 v[56:57], v[56:57], 2.0, v[20:21] op_sel_hi:[1,0,1] neg_lo:[0,0,1] neg_hi:[0,0,1]
	v_fma_f32 v59, v58, 2.0, -v41
	v_add_lshl_u32 v155, v16, v67, 3
	v_mov_b32_e32 v58, v55
	v_mov_b32_e32 v40, v64
	ds_write2_b64 v155, v[48:49], v[50:51] offset1:17
	ds_write2_b64 v155, v[56:57], v[58:59] offset0:34 offset1:51
	ds_write2_b64 v155, v[52:53], v[18:19] offset0:68 offset1:85
	;; [unrolled: 1-line block ×3, first 2 shown]
	s_waitcnt lgkmcnt(0)
	s_barrier
	s_and_saveexec_b64 s[6:7], s[2:3]
	s_xor_b64 s[6:7], exec, s[6:7]
	s_andn2_saveexec_b64 s[6:7], s[6:7]
	s_cbranch_execz .LBB0_9
; %bb.8:
	v_add_u32_e32 v16, 0x800, v68
	ds_read2_b64 v[56:59], v16 offset0:16 offset1:152
	v_add_u32_e32 v16, 0x1000, v68
	v_add_u32_e32 v17, 0x1800, v68
	ds_read2_b64 v[48:51], v68 offset1:136
	ds_read2_b64 v[38:41], v17 offset0:48 offset1:184
	ds_read2_b64 v[52:55], v16 offset0:32 offset1:168
	v_add_u32_e32 v16, 0x2000, v68
	ds_read2_b64 v[44:47], v16 offset0:64 offset1:200
	ds_read_b64 v[60:61], v68 offset:10880
	s_waitcnt lgkmcnt(3)
	v_mov_b32_e32 v62, v39
	s_waitcnt lgkmcnt(2)
	v_mov_b32_e32 v63, v55
	v_mov_b32_e32 v64, v40
	;; [unrolled: 1-line block ×4, first 2 shown]
.LBB0_9:
	s_or_b64 exec, exec, s[6:7]
	v_add_u32_e32 v16, 0xffffff78, v180
	v_cndmask_b32_e64 v16, v16, v180, s[0:1]
	v_mul_hi_i32_i24_e32 v17, 0x50, v16
	v_mul_i32_i24_e32 v16, 0x50, v16
	v_lshl_add_u64 v[66:67], s[4:5], 0, v[16:17]
	global_load_dwordx4 v[16:19], v[66:67], off offset:952
	global_load_dwordx4 v[24:27], v[66:67], off offset:968
	;; [unrolled: 1-line block ×5, first 2 shown]
	v_mov_b32_e32 v40, v51
	v_mov_b32_e32 v66, v57
	;; [unrolled: 1-line block ×5, first 2 shown]
	s_waitcnt lgkmcnt(1)
	v_mov_b32_e32 v86, v47
	s_waitcnt lgkmcnt(0)
	v_mov_b32_e32 v88, v61
	s_mov_b32 s4, 0xbf7d64f0
	v_mov_b32_e32 v84, v45
	s_mov_b32 s5, 0xbe11bafb
	s_mov_b32 s18, 0xbe903f40
	;; [unrolled: 1-line block ×31, first 2 shown]
	s_waitcnt vmcnt(4)
	v_pk_mul_f32 v[80:81], v[50:51], v[16:17]
	s_nop 0
	v_mov_b32_e32 v80, v17
	v_pk_mul_f32 v[90:91], v[56:57], v[18:19]
	v_pk_mul_f32 v[106:107], v[50:51], v[80:81]
	s_waitcnt vmcnt(0)
	v_pk_mul_f32 v[104:105], v[60:61], v[38:39]
	v_mov_b32_e32 v90, v19
	v_mov_b32_e32 v104, v81
	v_mul_f32_e32 v67, v55, v24
	v_mul_f32_e32 v92, v55, v25
	v_pk_mul_f32 v[94:95], v[52:53], v[26:27]
	v_mov_b32_e32 v108, v91
	v_pk_mul_f32 v[90:91], v[56:57], v[90:91]
	v_mov_b32_e32 v122, v105
	v_pk_fma_f32 v[50:51], v[50:51], v[16:17], v[104:105] neg_lo:[0,0,1] neg_hi:[0,0,1]
	v_pk_fma_f32 v[104:105], v[40:41], v[16:17], v[106:107]
	v_mov_b32_e32 v94, v27
	v_pk_mul_f32 v[96:97], v[62:63], v[20:21]
	v_pk_mul_f32 v[100:101], v[64:65], v[22:23]
	;; [unrolled: 1-line block ×3, first 2 shown]
	v_fma_f32 v110, -v59, v25, v67
	v_fmac_f32_e32 v92, v59, v24
	v_pk_fma_f32 v[106:107], v[56:57], v[18:19], v[108:109] neg_lo:[0,0,1] neg_hi:[0,0,1]
	v_pk_fma_f32 v[90:91], v[66:67], v[18:19], v[90:91]
	v_add_f32_e32 v59, v48, v50
	v_add_f32_e32 v66, v49, v104
	v_mov_b32_e32 v96, v21
	v_mul_f32_e32 v69, v64, v28
	v_mul_f32_e32 v58, v64, v29
	v_pk_mul_f32 v[64:65], v[44:45], v[30:31]
	v_mov_b32_e32 v100, v37
	v_mov_b32_e32 v102, v39
	;; [unrolled: 1-line block ×3, first 2 shown]
	v_pk_mul_f32 v[94:95], v[52:53], v[94:95]
	v_add_f32_e32 v59, v59, v106
	v_add_f32_e32 v66, v66, v90
	v_mov_b32_e32 v98, v23
	v_mov_b32_e32 v64, v31
	;; [unrolled: 1-line block ×3, first 2 shown]
	v_pk_mul_f32 v[96:97], v[54:55], v[96:97]
	v_mov_b32_e32 v116, v101
	v_mov_b32_e32 v120, v103
	v_pk_mul_f32 v[100:101], v[46:47], v[100:101]
	v_pk_mul_f32 v[102:103], v[60:61], v[102:103]
	v_pk_fma_f32 v[108:109], v[52:53], v[26:27], v[112:113] neg_lo:[0,0,1] neg_hi:[0,0,1]
	v_pk_fma_f32 v[94:95], v[76:77], v[26:27], v[94:95]
	v_pk_fma_f32 v[60:61], v[60:61], v[38:39], v[122:123] neg_lo:[0,0,1] neg_hi:[0,0,1]
	v_add_f32_e32 v59, v59, v110
	v_add_f32_e32 v66, v66, v92
	v_pk_mul_f32 v[98:99], v[62:63], v[98:99]
	v_fma_f32 v80, -v41, v29, v69
	v_fmac_f32_e32 v58, v41, v28
	v_mov_b32_e32 v118, v65
	v_pk_mul_f32 v[64:65], v[44:45], v[64:65]
	v_pk_fma_f32 v[54:55], v[54:55], v[20:21], v[114:115] neg_lo:[0,0,1] neg_hi:[0,0,1]
	v_pk_fma_f32 v[40:41], v[78:79], v[20:21], v[96:97]
	v_pk_fma_f32 v[52:53], v[62:63], v[22:23], v[116:117]
	v_pk_fma_f32 v[46:47], v[46:47], v[36:37], v[120:121] neg_lo:[0,0,1] neg_hi:[0,0,1]
	v_pk_fma_f32 v[78:79], v[86:87], v[36:37], v[100:101]
	v_pk_fma_f32 v[62:63], v[88:89], v[38:39], v[102:103]
	v_pk_add_f32 v[86:87], v[50:51], v[60:61]
	v_add_f32_e32 v59, v59, v108
	v_add_f32_e32 v66, v66, v94
	v_pk_add_f32 v[50:51], v[50:51], v[60:61] neg_lo:[0,1] neg_hi:[0,1]
	v_pk_fma_f32 v[56:57], v[82:83], v[22:23], v[98:99] neg_lo:[0,0,1] neg_hi:[0,0,1]
	v_pk_fma_f32 v[82:83], v[44:45], v[30:31], v[118:119] neg_lo:[0,0,1] neg_hi:[0,0,1]
	v_pk_fma_f32 v[84:85], v[84:85], v[30:31], v[64:65]
	v_mov_b32_e32 v44, v46
	v_mov_b32_e32 v64, v60
	;; [unrolled: 1-line block ×3, first 2 shown]
	v_add_f32_e32 v59, v59, v54
	v_add_f32_e32 v66, v66, v40
	v_mov_b32_e32 v87, v50
	v_pk_add_f32 v[60:61], v[104:105], v[62:63] neg_lo:[0,1] neg_hi:[0,1]
	v_pk_add_f32 v[62:63], v[104:105], v[62:63]
	v_pk_add_f32 v[104:105], v[106:107], v[46:47]
	v_pk_add_f32 v[46:47], v[106:107], v[46:47] neg_lo:[0,1] neg_hi:[0,1]
	v_add_f32_e32 v59, v59, v56
	v_add_f32_e32 v66, v66, v52
	v_mov_b32_e32 v50, v60
	v_mov_b32_e32 v51, v62
	v_pk_mul_f32 v[88:89], v[86:87], s[16:17]
	v_mov_b32_e32 v105, v46
	v_pk_add_f32 v[46:47], v[90:91], v[78:79] neg_lo:[0,1] neg_hi:[0,1]
	v_pk_add_f32 v[90:91], v[90:91], v[78:79]
	v_mov_b32_e32 v45, v78
	v_add_f32_e32 v59, v59, v80
	v_add_f32_e32 v67, v66, v58
	v_pk_fma_f32 v[62:63], v[60:61], s[4:5], v[88:89] neg_lo:[1,0,0] neg_hi:[1,0,0]
	v_pk_fma_f32 v[96:97], v[50:51], s[4:5], v[88:89]
	v_mov_b32_e32 v78, v46
	v_mov_b32_e32 v79, v90
	v_pk_mul_f32 v[90:91], v[86:87], s[36:37]
	v_pk_mul_f32 v[118:119], v[104:105], s[44:45]
	v_add_f32_e32 v66, v59, v82
	v_add_f32_e32 v67, v67, v84
	v_mov_b32_e32 v63, v97
	v_pk_fma_f32 v[106:107], v[60:61], s[24:25], v[90:91] neg_lo:[1,0,0] neg_hi:[1,0,0]
	v_pk_fma_f32 v[112:113], v[50:51], s[24:25], v[90:91]
	v_pk_fma_f32 v[90:91], v[50:51], s[24:25], v[90:91] neg_lo:[0,0,1] neg_hi:[0,0,1]
	v_pk_fma_f32 v[120:121], v[46:47], s[38:39], v[118:119] neg_lo:[1,0,0] neg_hi:[1,0,0]
	v_pk_fma_f32 v[122:123], v[78:79], s[38:39], v[118:119]
	v_pk_add_f32 v[44:45], v[66:67], v[44:45]
	v_pk_add_f32 v[98:99], v[48:49], v[62:63]
	v_pk_mul_f32 v[66:67], v[86:87], s[22:23]
	v_mov_b32_e32 v107, v113
	v_mov_b32_e32 v113, v91
	v_mov_b32_e32 v121, v123
	v_pk_add_f32 v[44:45], v[44:45], v[64:65]
	v_pk_fma_f32 v[64:65], v[60:61], s[6:7], v[66:67] neg_lo:[1,0,0] neg_hi:[1,0,0]
	v_pk_fma_f32 v[62:63], v[50:51], s[6:7], v[66:67]
	v_pk_add_f32 v[90:91], v[48:49], v[112:113]
	v_pk_mul_f32 v[112:113], v[104:105], s[40:41]
	v_pk_add_f32 v[98:99], v[120:121], v[98:99]
	v_pk_mul_f32 v[120:121], v[104:105], s[42:43]
	v_mov_b32_e32 v65, v63
	v_pk_mul_f32 v[76:77], v[86:87], s[30:31]
	v_pk_fma_f32 v[114:115], v[46:47], s[20:21], v[112:113] neg_lo:[1,0,0] neg_hi:[1,0,0]
	v_pk_fma_f32 v[116:117], v[78:79], s[20:21], v[112:113]
	v_pk_fma_f32 v[112:113], v[78:79], s[20:21], v[112:113] neg_lo:[0,0,1] neg_hi:[0,0,1]
	v_pk_fma_f32 v[124:125], v[46:47], s[28:29], v[120:121] neg_lo:[1,0,0] neg_hi:[1,0,0]
	v_pk_fma_f32 v[126:127], v[78:79], s[28:29], v[120:121]
	v_pk_add_f32 v[100:101], v[48:49], v[64:65]
	v_pk_fma_f32 v[102:103], v[60:61], s[18:19], v[76:77] neg_lo:[1,0,0] neg_hi:[1,0,0]
	v_pk_fma_f32 v[64:65], v[50:51], s[18:19], v[76:77]
	v_pk_add_f32 v[106:107], v[48:49], v[106:107]
	v_mov_b32_e32 v115, v117
	v_mov_b32_e32 v117, v113
	v_pk_mul_f32 v[112:113], v[104:105], s[22:23]
	v_mov_b32_e32 v125, v127
	v_pk_mul_f32 v[104:105], v[104:105], s[34:35]
	v_mov_b32_e32 v103, v65
	v_pk_add_f32 v[106:107], v[114:115], v[106:107]
	v_pk_fma_f32 v[114:115], v[46:47], s[6:7], v[112:113] neg_lo:[1,0,0] neg_hi:[1,0,0]
	v_pk_add_f32 v[100:101], v[124:125], v[100:101]
	v_pk_fma_f32 v[46:47], v[46:47], s[26:27], v[104:105] neg_lo:[1,0,0] neg_hi:[1,0,0]
	v_pk_fma_f32 v[124:125], v[78:79], s[26:27], v[104:105]
	v_pk_add_f32 v[102:103], v[48:49], v[102:103]
	v_mov_b32_e32 v47, v125
	v_pk_add_f32 v[46:47], v[46:47], v[102:103]
	v_pk_add_f32 v[102:103], v[110:111], v[82:83]
	v_pk_add_f32 v[82:83], v[110:111], v[82:83] neg_lo:[0,1] neg_hi:[0,1]
	v_pk_mul_f32 v[86:87], v[86:87], s[40:41]
	v_mov_b32_e32 v103, v82
	v_pk_add_f32 v[82:83], v[92:93], v[84:85] neg_lo:[0,1] neg_hi:[0,1]
	v_pk_add_f32 v[84:85], v[92:93], v[84:85]
	v_mov_b32_e32 v92, v82
	v_mov_b32_e32 v93, v84
	v_pk_mul_f32 v[84:85], v[102:103], s[16:17]
	v_pk_fma_f32 v[60:61], v[60:61], s[20:21], v[86:87] neg_lo:[1,0,0] neg_hi:[1,0,0]
	v_pk_fma_f32 v[110:111], v[82:83], s[4:5], v[84:85] neg_lo:[1,0,0] neg_hi:[1,0,0]
	v_pk_fma_f32 v[128:129], v[92:93], s[4:5], v[84:85]
	v_pk_fma_f32 v[134:135], v[50:51], s[20:21], v[86:87]
	v_mov_b32_e32 v111, v129
	v_pk_add_f32 v[106:107], v[110:111], v[106:107]
	v_pk_mul_f32 v[110:111], v[102:103], s[44:45]
	v_pk_fma_f32 v[86:87], v[50:51], s[20:21], v[86:87] neg_lo:[0,0,1] neg_hi:[0,0,1]
	s_mov_b32 s20, 0x3f68dda4
	v_pk_add_f32 v[90:91], v[116:117], v[90:91]
	v_pk_fma_f32 v[116:117], v[78:79], s[6:7], v[112:113]
	v_pk_fma_f32 v[130:131], v[82:83], s[38:39], v[110:111] neg_lo:[1,0,0] neg_hi:[1,0,0]
	v_pk_fma_f32 v[132:133], v[92:93], s[38:39], v[110:111]
	v_mov_b32_e32 v61, v135
	v_pk_fma_f32 v[110:111], v[92:93], s[38:39], v[110:111] neg_lo:[0,0,1] neg_hi:[0,0,1]
	s_mov_b32 s41, s20
	v_mov_b32_e32 v115, v117
	v_mov_b32_e32 v131, v133
	v_pk_add_f32 v[60:61], v[48:49], v[60:61]
	v_pk_fma_f32 v[112:113], v[78:79], s[6:7], v[112:113] neg_lo:[0,0,1] neg_hi:[0,0,1]
	v_mov_b32_e32 v133, v111
	v_pk_mul_f32 v[110:111], v[102:103], s[40:41]
	v_pk_add_f32 v[60:61], v[114:115], v[60:61]
	v_mov_b32_e32 v117, v113
	v_pk_fma_f32 v[112:113], v[82:83], s[20:21], v[110:111] neg_lo:[1,0,0] neg_hi:[1,0,0]
	v_pk_fma_f32 v[114:115], v[92:93], s[20:21], v[110:111]
	v_mov_b32_e32 v135, v87
	v_mov_b32_e32 v113, v115
	v_pk_add_f32 v[86:87], v[48:49], v[134:135]
	v_pk_add_f32 v[98:99], v[112:113], v[98:99]
	v_pk_mul_f32 v[112:113], v[102:103], s[36:37]
	v_pk_add_f32 v[86:87], v[116:117], v[86:87]
	v_pk_add_f32 v[60:61], v[130:131], v[60:61]
	v_pk_fma_f32 v[116:117], v[82:83], s[24:25], v[112:113] neg_lo:[1,0,0] neg_hi:[1,0,0]
	v_pk_fma_f32 v[130:131], v[92:93], s[24:25], v[112:113]
	v_pk_mul_f32 v[102:103], v[102:103], s[22:23]
	v_mov_b32_e32 v117, v131
	v_pk_add_f32 v[100:101], v[116:117], v[100:101]
	v_pk_fma_f32 v[82:83], v[82:83], s[6:7], v[102:103] neg_lo:[1,0,0] neg_hi:[1,0,0]
	v_pk_fma_f32 v[116:117], v[92:93], s[6:7], v[102:103]
	v_pk_add_f32 v[86:87], v[132:133], v[86:87]
	v_mov_b32_e32 v83, v117
	v_pk_add_f32 v[46:47], v[82:83], v[46:47]
	v_pk_add_f32 v[82:83], v[108:109], v[80:81]
	v_pk_add_f32 v[80:81], v[108:109], v[80:81] neg_lo:[0,1] neg_hi:[0,1]
	v_pk_fma_f32 v[88:89], v[50:51], s[4:5], v[88:89] neg_lo:[0,0,1] neg_hi:[0,0,1]
	v_mov_b32_e32 v83, v80
	v_pk_add_f32 v[80:81], v[94:95], v[58:59] neg_lo:[0,1] neg_hi:[0,1]
	v_pk_add_f32 v[58:59], v[94:95], v[58:59]
	v_mov_b32_e32 v94, v80
	v_mov_b32_e32 v95, v58
	v_pk_mul_f32 v[58:59], v[82:83], s[22:23]
	v_mov_b32_e32 v97, v89
	v_pk_fma_f32 v[108:109], v[80:81], s[6:7], v[58:59] neg_lo:[1,0,0] neg_hi:[1,0,0]
	v_pk_fma_f32 v[132:133], v[94:95], s[6:7], v[58:59]
	v_pk_add_f32 v[88:89], v[48:49], v[96:97]
	v_mov_b32_e32 v109, v133
	v_pk_add_f32 v[106:107], v[108:109], v[106:107]
	v_pk_mul_f32 v[108:109], v[82:83], s[42:43]
	v_pk_fma_f32 v[96:97], v[78:79], s[38:39], v[118:119] neg_lo:[0,0,1] neg_hi:[0,0,1]
	v_pk_fma_f32 v[134:135], v[80:81], s[28:29], v[108:109] neg_lo:[1,0,0] neg_hi:[1,0,0]
	v_pk_fma_f32 v[136:137], v[94:95], s[28:29], v[108:109]
	v_mov_b32_e32 v123, v97
	v_mov_b32_e32 v135, v137
	v_pk_add_f32 v[60:61], v[134:135], v[60:61]
	v_pk_mul_f32 v[134:135], v[82:83], s[36:37]
	v_pk_fma_f32 v[96:97], v[92:93], s[20:21], v[110:111] neg_lo:[0,0,1] neg_hi:[0,0,1]
	v_pk_fma_f32 v[138:139], v[80:81], s[24:25], v[134:135] neg_lo:[1,0,0] neg_hi:[1,0,0]
	v_pk_fma_f32 v[140:141], v[94:95], s[24:25], v[134:135]
	v_mov_b32_e32 v115, v97
	v_pk_fma_f32 v[96:97], v[94:95], s[24:25], v[134:135] neg_lo:[0,0,1] neg_hi:[0,0,1]
	v_mov_b32_e32 v139, v141
	v_pk_add_f32 v[88:89], v[122:123], v[88:89]
	v_mov_b32_e32 v141, v97
	v_pk_mul_f32 v[96:97], v[82:83], s[30:31]
	v_pk_add_f32 v[88:89], v[114:115], v[88:89]
	v_pk_fma_f32 v[110:111], v[80:81], s[18:19], v[96:97] neg_lo:[1,0,0] neg_hi:[1,0,0]
	v_pk_fma_f32 v[114:115], v[94:95], s[18:19], v[96:97]
	v_pk_mul_f32 v[82:83], v[82:83], s[40:41]
	v_mov_b32_e32 v111, v115
	v_pk_add_f32 v[100:101], v[110:111], v[100:101]
	v_pk_fma_f32 v[80:81], v[80:81], s[20:21], v[82:83] neg_lo:[1,0,0] neg_hi:[1,0,0]
	v_pk_fma_f32 v[110:111], v[94:95], s[20:21], v[82:83]
	v_pk_add_f32 v[122:123], v[40:41], v[52:53] neg_lo:[0,1] neg_hi:[0,1]
	v_mov_b32_e32 v81, v111
	v_pk_add_f32 v[80:81], v[80:81], v[46:47]
	v_pk_add_f32 v[46:47], v[54:55], v[56:57] neg_lo:[0,1] neg_hi:[0,1]
	v_pk_add_f32 v[40:41], v[40:41], v[52:53]
	v_pk_fma_f32 v[84:85], v[92:93], s[4:5], v[84:85] neg_lo:[0,0,1] neg_hi:[0,0,1]
	v_pk_add_f32 v[118:119], v[54:55], v[56:57]
	v_mov_b32_e32 v135, v40
	v_mov_b32_e32 v57, v40
	;; [unrolled: 1-line block ×4, first 2 shown]
	v_pk_fma_f32 v[58:59], v[94:95], s[6:7], v[58:59] neg_lo:[0,0,1] neg_hi:[0,0,1]
	v_mov_b32_e32 v129, v85
	v_mov_b32_e32 v56, v118
	v_pk_mul_f32 v[40:41], v[40:41], s[18:19] op_sel_hi:[1,0]
	v_mov_b32_e32 v119, v46
	v_pk_add_f32 v[52:53], v[128:129], v[90:91]
	v_mov_b32_e32 v133, v59
	v_pk_fma_f32 v[58:59], v[56:57], s[30:31], v[40:41] op_sel_hi:[1,0,1] neg_lo:[0,0,1] neg_hi:[0,0,1]
	v_pk_fma_f32 v[40:41], v[56:57], s[30:31], v[40:41] op_sel_hi:[1,0,1]
	v_pk_fma_f32 v[108:109], v[94:95], s[28:29], v[108:109] neg_lo:[0,0,1] neg_hi:[0,0,1]
	v_mov_b32_e32 v134, v122
	v_pk_add_f32 v[52:53], v[132:133], v[52:53]
	v_mov_b32_e32 v47, v41
	v_mov_b32_e32 v41, v59
	v_pk_mul_f32 v[56:57], v[118:119], s[34:35]
	v_mov_b32_e32 v137, v109
	v_mov_b32_e32 v46, v58
	v_pk_add_f32 v[40:41], v[40:41], v[52:53]
	v_pk_fma_f32 v[52:53], v[122:123], s[26:27], v[56:57] neg_lo:[1,0,0] neg_hi:[1,0,0]
	v_pk_fma_f32 v[58:59], v[134:135], s[26:27], v[56:57]
	v_pk_fma_f32 v[56:57], v[134:135], s[26:27], v[56:57] neg_lo:[0,0,1] neg_hi:[0,0,1]
	v_pk_fma_f32 v[66:67], v[50:51], s[6:7], v[66:67] neg_lo:[0,0,1] neg_hi:[0,0,1]
	v_pk_add_f32 v[54:55], v[136:137], v[86:87]
	v_mov_b32_e32 v53, v59
	v_mov_b32_e32 v59, v57
	v_pk_mul_f32 v[56:57], v[118:119], s[22:23]
	v_mov_b32_e32 v63, v67
	v_pk_fma_f32 v[66:67], v[78:79], s[28:29], v[120:121] neg_lo:[0,0,1] neg_hi:[0,0,1]
	v_pk_add_f32 v[52:53], v[52:53], v[60:61]
	v_pk_add_f32 v[58:59], v[58:59], v[54:55]
	v_pk_fma_f32 v[54:55], v[122:123], s[6:7], v[56:57] neg_lo:[1,0,0] neg_hi:[1,0,0]
	v_pk_fma_f32 v[60:61], v[134:135], s[6:7], v[56:57]
	v_pk_fma_f32 v[56:57], v[134:135], s[6:7], v[56:57] neg_lo:[0,0,1] neg_hi:[0,0,1]
	v_pk_add_f32 v[62:63], v[48:49], v[62:63]
	v_mov_b32_e32 v127, v67
	v_pk_fma_f32 v[66:67], v[92:93], s[24:25], v[112:113] neg_lo:[0,0,1] neg_hi:[0,0,1]
	v_pk_fma_f32 v[50:51], v[50:51], s[18:19], v[76:77] neg_lo:[0,0,1] neg_hi:[0,0,1]
	v_pk_add_f32 v[88:89], v[140:141], v[88:89]
	v_mov_b32_e32 v55, v61
	v_mov_b32_e32 v61, v57
	v_pk_mul_f32 v[84:85], v[118:119], s[40:41]
	v_pk_add_f32 v[62:63], v[126:127], v[62:63]
	v_mov_b32_e32 v131, v67
	v_pk_fma_f32 v[66:67], v[94:95], s[18:19], v[96:97] neg_lo:[0,0,1] neg_hi:[0,0,1]
	v_mov_b32_e32 v65, v51
	v_pk_fma_f32 v[50:51], v[78:79], s[26:27], v[104:105] neg_lo:[0,0,1] neg_hi:[0,0,1]
	v_pk_add_f32 v[56:57], v[60:61], v[88:89]
	v_pk_fma_f32 v[60:61], v[122:123], s[20:21], v[84:85] neg_lo:[1,0,0] neg_hi:[1,0,0]
	v_pk_fma_f32 v[86:87], v[134:135], s[20:21], v[84:85]
	v_pk_add_f32 v[62:63], v[130:131], v[62:63]
	v_mov_b32_e32 v115, v67
	v_pk_fma_f32 v[66:67], v[134:135], s[20:21], v[84:85] neg_lo:[0,0,1] neg_hi:[0,0,1]
	v_pk_add_f32 v[48:49], v[48:49], v[64:65]
	v_mov_b32_e32 v125, v51
	v_pk_fma_f32 v[50:51], v[92:93], s[6:7], v[102:103] neg_lo:[0,0,1] neg_hi:[0,0,1]
	v_mov_b32_e32 v61, v87
	v_pk_add_f32 v[62:63], v[114:115], v[62:63]
	v_mov_b32_e32 v87, v67
	v_pk_mul_f32 v[84:85], v[118:119], s[16:17]
	v_pk_add_f32 v[48:49], v[124:125], v[48:49]
	v_mov_b32_e32 v117, v51
	v_pk_fma_f32 v[50:51], v[94:95], s[20:21], v[82:83] neg_lo:[0,0,1] neg_hi:[0,0,1]
	v_pk_add_f32 v[66:67], v[86:87], v[62:63]
	v_pk_fma_f32 v[62:63], v[122:123], s[4:5], v[84:85] neg_lo:[1,0,0] neg_hi:[1,0,0]
	v_pk_fma_f32 v[86:87], v[134:135], s[4:5], v[84:85]
	v_pk_add_f32 v[48:49], v[116:117], v[48:49]
	v_mov_b32_e32 v111, v51
	v_pk_fma_f32 v[50:51], v[134:135], s[4:5], v[84:85] neg_lo:[0,0,1] neg_hi:[0,0,1]
	v_pk_add_f32 v[98:99], v[138:139], v[98:99]
	v_mov_b32_e32 v63, v87
	v_pk_add_f32 v[48:49], v[110:111], v[48:49]
	v_mov_b32_e32 v87, v51
	v_pk_add_f32 v[46:47], v[46:47], v[106:107]
	v_pk_add_f32 v[54:55], v[54:55], v[98:99]
	;; [unrolled: 1-line block ×5, first 2 shown]
	s_and_saveexec_b64 s[4:5], s[0:1]
	s_cbranch_execz .LBB0_11
; %bb.10:
	v_add_u32_e32 v48, 0x800, v68
	ds_write2_b64 v48, v[52:53], v[54:55] offset0:16 offset1:152
	v_add_u32_e32 v48, 0x1000, v68
	ds_write2_b64 v48, v[60:61], v[62:63] offset0:32 offset1:168
	;; [unrolled: 2-line block ×3, first 2 shown]
	v_add_u32_e32 v48, 0x2000, v68
	ds_write2_b64 v68, v[44:45], v[46:47] offset1:136
	ds_write2_b64 v48, v[56:57], v[58:59] offset0:64 offset1:200
	ds_write_b64 v68, v[40:41] offset:10880
.LBB0_11:
	s_or_b64 exec, exec, s[4:5]
	s_waitcnt lgkmcnt(0)
	s_barrier
	s_and_saveexec_b64 s[6:7], vcc
	s_cbranch_execz .LBB0_13
; %bb.12:
	s_add_u32 s16, s12, 0x2ec0
	s_addc_u32 s17, s13, 0
	global_load_dwordx2 v[48:49], v68, s[16:17]
	global_load_dwordx2 v[96:97], v68, s[16:17] offset:704
	v_mov_b32_e32 v69, 0
	s_movk_i32 s4, 0x1000
	v_lshl_add_u64 v[50:51], s[16:17], 0, v[68:69]
	v_add_co_u32_e64 v76, s[4:5], s4, v50
	global_load_dwordx2 v[98:99], v68, s[16:17] offset:1408
	global_load_dwordx2 v[100:101], v68, s[16:17] offset:2112
	;; [unrolled: 1-line block ×4, first 2 shown]
	v_addc_co_u32_e64 v77, s[4:5], 0, v51, s[4:5]
	global_load_dwordx2 v[106:107], v[76:77], off offset:128
	global_load_dwordx2 v[108:109], v[76:77], off offset:832
	;; [unrolled: 1-line block ×6, first 2 shown]
	s_movk_i32 s4, 0x2000
	v_add_co_u32_e64 v50, s[4:5], s4, v50
	v_or_b32_e32 v78, 0x2c00, v68
	s_nop 0
	v_addc_co_u32_e64 v51, s[4:5], 0, v51, s[4:5]
	global_load_dwordx2 v[118:119], v[50:51], off offset:256
	global_load_dwordx2 v[120:121], v[50:51], off offset:960
	;; [unrolled: 1-line block ×3, first 2 shown]
	ds_read_b64 v[76:77], v68
	global_load_dwordx2 v[124:125], v[50:51], off offset:2368
	global_load_dwordx2 v[126:127], v78, s[16:17]
	v_add_u32_e32 v69, 0x800, v68
	v_add_u32_e32 v70, 0xc00, v68
	;; [unrolled: 1-line block ×5, first 2 shown]
	s_waitcnt vmcnt(16) lgkmcnt(0)
	v_mul_f32_e32 v50, v77, v49
	v_mul_f32_e32 v51, v76, v49
	v_fma_f32 v50, v76, v48, -v50
	v_fmac_f32_e32 v51, v77, v48
	ds_write_b64 v68, v[50:51]
	ds_read2_b64 v[48:51], v68 offset0:88 offset1:176
	ds_read2_b64 v[76:79], v69 offset0:8 offset1:96
	;; [unrolled: 1-line block ×6, first 2 shown]
	s_waitcnt vmcnt(15) lgkmcnt(5)
	v_mul_f32_e32 v128, v49, v97
	v_mul_f32_e32 v129, v48, v97
	s_waitcnt vmcnt(14)
	v_mul_f32_e32 v130, v51, v99
	v_mul_f32_e32 v97, v50, v99
	s_waitcnt vmcnt(13) lgkmcnt(4)
	v_mul_f32_e32 v131, v77, v101
	v_mul_f32_e32 v99, v76, v101
	s_waitcnt vmcnt(12)
	v_mul_f32_e32 v132, v79, v103
	v_mul_f32_e32 v101, v78, v103
	;; [unrolled: 6-line block ×5, first 2 shown]
	v_fma_f32 v128, v48, v96, -v128
	v_fmac_f32_e32 v129, v49, v96
	v_fma_f32 v96, v50, v98, -v130
	v_fmac_f32_e32 v97, v51, v98
	;; [unrolled: 2-line block ×10, first 2 shown]
	ds_write2_b64 v68, v[128:129], v[96:97] offset0:88 offset1:176
	ds_write2_b64 v69, v[98:99], v[100:101] offset0:8 offset1:96
	ds_write2_b64 v70, v[102:103], v[104:105] offset0:56 offset1:144
	ds_write2_b64 v71, v[106:107], v[108:109] offset0:104 offset1:192
	ds_write2_b64 v72, v[110:111], v[112:113] offset0:24 offset1:112
	s_waitcnt vmcnt(5) lgkmcnt(5)
	v_mul_f32_e32 v48, v93, v117
	v_add_u32_e32 v70, 0x2000, v68
	v_fma_f32 v76, v92, v116, -v48
	ds_read2_b64 v[48:51], v70 offset0:120 offset1:208
	s_waitcnt vmcnt(4)
	v_mul_f32_e32 v69, v95, v119
	v_mul_f32_e32 v77, v92, v117
	v_fma_f32 v78, v94, v118, -v69
	v_mul_f32_e32 v79, v94, v119
	s_waitcnt vmcnt(3) lgkmcnt(0)
	v_mul_f32_e32 v69, v49, v121
	v_fmac_f32_e32 v77, v93, v116
	v_fmac_f32_e32 v79, v95, v118
	v_fma_f32 v80, v48, v120, -v69
	v_add_u32_e32 v69, 0x2800, v68
	ds_write2_b64 v73, v[76:77], v[78:79] offset0:72 offset1:160
	ds_read2_b64 v[76:79], v69 offset0:40 offset1:128
	v_mul_f32_e32 v81, v48, v121
	v_fmac_f32_e32 v81, v49, v120
	s_waitcnt vmcnt(2)
	v_mul_f32_e32 v48, v51, v123
	v_mul_f32_e32 v49, v50, v123
	v_fma_f32 v48, v50, v122, -v48
	v_fmac_f32_e32 v49, v51, v122
	ds_write2_b64 v70, v[80:81], v[48:49] offset0:120 offset1:208
	s_waitcnt vmcnt(1) lgkmcnt(1)
	v_mul_f32_e32 v48, v77, v125
	v_mul_f32_e32 v49, v76, v125
	s_waitcnt vmcnt(0)
	v_mul_f32_e32 v50, v79, v127
	v_mul_f32_e32 v51, v78, v127
	v_fma_f32 v48, v76, v124, -v48
	v_fmac_f32_e32 v49, v77, v124
	v_fma_f32 v50, v78, v126, -v50
	v_fmac_f32_e32 v51, v79, v126
	ds_write2_b64 v69, v[48:49], v[50:51] offset0:40 offset1:128
.LBB0_13:
	s_or_b64 exec, exec, s[6:7]
	s_waitcnt lgkmcnt(0)
	s_barrier
	s_and_saveexec_b64 s[4:5], vcc
	s_cbranch_execz .LBB0_15
; %bb.14:
	v_add_u32_e32 v8, 0x400, v68
	ds_read2_b64 v[52:55], v8 offset0:48 offset1:136
	v_add_u32_e32 v8, 0x800, v68
	ds_read2_b64 v[60:63], v8 offset0:96 offset1:184
	;; [unrolled: 2-line block ×6, first 2 shown]
	v_add_u32_e32 v8, 0x2400, v68
	ds_read2_b64 v[44:47], v68 offset1:88
	ds_read2_b64 v[8:11], v8 offset0:80 offset1:168
	ds_read_b64 v[74:75], v68 offset:11264
.LBB0_15:
	s_or_b64 exec, exec, s[4:5]
	s_waitcnt lgkmcnt(0)
	v_pk_add_f32 v[110:111], v[74:75], v[46:47]
	v_pk_add_f32 v[114:115], v[46:47], v[74:75] neg_lo:[0,1] neg_hi:[0,1]
	s_mov_b32 s42, 0xbf06c442
	v_pk_add_f32 v[48:49], v[52:53], v[10:11] neg_lo:[0,1] neg_hi:[0,1]
	v_pk_add_f32 v[108:109], v[52:53], v[10:11]
	v_mov_b32_e32 v156, v115
	v_mov_b32_e32 v157, v111
	s_mov_b32 s43, 0xbf59a7d5
	s_mov_b32 s40, 0x3f65296c
	v_mov_b32_e32 v80, v108
	v_mov_b32_e32 v108, v49
	v_pk_add_f32 v[76:77], v[56:57], v[58:59] neg_lo:[0,1] neg_hi:[0,1]
	v_pk_add_f32 v[96:97], v[56:57], v[58:59]
	v_pk_mul_f32 v[78:79], v[156:157], s[42:43]
	v_mov_b32_e32 v116, v110
	v_mov_b32_e32 v117, v114
	s_mov_b32 s4, s43
	s_mov_b32 s5, s42
	;; [unrolled: 1-line block ×3, first 2 shown]
	v_mov_b32_e32 v81, v48
	v_pk_add_f32 v[50:51], v[54:55], v[8:9] neg_lo:[0,1] neg_hi:[0,1]
	v_pk_add_f32 v[106:107], v[54:55], v[8:9]
	v_mov_b32_e32 v92, v96
	v_mov_b32_e32 v93, v76
	;; [unrolled: 1-line block ×3, first 2 shown]
	v_pk_fma_f32 v[76:77], v[116:117], s[4:5], v[78:79] neg_lo:[0,0,1] neg_hi:[0,0,1]
	v_pk_fma_f32 v[94:95], v[116:117], s[4:5], v[78:79]
	v_pk_mul_f32 v[70:71], v[108:109], s[40:41]
	s_mov_b32 s16, s41
	s_mov_b32 s17, s40
	;; [unrolled: 1-line block ×3, first 2 shown]
	v_mov_b32_e32 v82, v106
	v_mov_b32_e32 v106, v51
	v_pk_add_f32 v[146:147], v[60:61], v[34:35] neg_lo:[0,1] neg_hi:[0,1]
	v_pk_add_f32 v[104:105], v[60:61], v[34:35]
	v_mov_b32_e32 v77, v95
	v_pk_fma_f32 v[122:123], v[80:81], s[16:17], v[70:71] neg_lo:[0,0,1] neg_hi:[0,0,1]
	v_pk_fma_f32 v[118:119], v[80:81], s[16:17], v[70:71]
	s_mov_b32 s63, 0x3dbcf732
	s_mov_b32 s50, 0x3f4c4adb
	v_mov_b32_e32 v83, v50
	v_mov_b32_e32 v84, v104
	;; [unrolled: 1-line block ×3, first 2 shown]
	v_pk_add_f32 v[76:77], v[44:45], v[76:77]
	v_mov_b32_e32 v123, v119
	v_pk_mul_f32 v[120:121], v[106:107], s[62:63]
	s_mov_b32 s6, s63
	s_mov_b32 s7, s62
	s_mov_b32 s51, 0xbf1a4643
	v_mov_b32_e32 v85, v146
	v_pk_add_f32 v[148:149], v[62:63], v[32:33] neg_lo:[0,1] neg_hi:[0,1]
	v_pk_add_f32 v[102:103], v[62:63], v[32:33]
	v_pk_add_f32 v[76:77], v[122:123], v[76:77]
	v_pk_fma_f32 v[126:127], v[82:83], s[6:7], v[120:121] neg_lo:[0,0,1] neg_hi:[0,0,1]
	v_pk_fma_f32 v[122:123], v[82:83], s[6:7], v[120:121]
	v_pk_mul_f32 v[124:125], v[104:105], s[50:51]
	s_mov_b32 s28, s51
	s_mov_b32 s29, s50
	s_mov_b32 s48, 0xbeb8f4ab
	v_mov_b32_e32 v86, v102
	v_mov_b32_e32 v102, v149
	v_pk_add_f32 v[150:151], v[64:65], v[42:43] neg_lo:[0,1] neg_hi:[0,1]
	v_pk_add_f32 v[100:101], v[64:65], v[42:43]
	v_mov_b32_e32 v127, v123
	v_pk_fma_f32 v[130:131], v[84:85], s[28:29], v[124:125] neg_lo:[0,0,1] neg_hi:[0,0,1]
	v_pk_fma_f32 v[128:129], v[84:85], s[28:29], v[124:125]
	s_mov_b32 s49, 0x3f6eb680
	s_mov_b32 s46, 0xbe3c28d5
	v_mov_b32_e32 v87, v148
	v_mov_b32_e32 v88, v100
	;; [unrolled: 1-line block ×3, first 2 shown]
	v_pk_add_f32 v[76:77], v[126:127], v[76:77]
	v_mov_b32_e32 v131, v129
	v_pk_mul_f32 v[126:127], v[102:103], s[48:49]
	s_mov_b32 s22, s49
	s_mov_b32 s23, s48
	;; [unrolled: 1-line block ×3, first 2 shown]
	v_mov_b32_e32 v89, v150
	v_pk_add_f32 v[152:153], v[66:67], v[40:41] neg_lo:[0,1] neg_hi:[0,1]
	v_pk_add_f32 v[98:99], v[66:67], v[40:41]
	v_pk_add_f32 v[76:77], v[130:131], v[76:77]
	v_pk_fma_f32 v[134:135], v[86:87], s[22:23], v[126:127] neg_lo:[0,0,1] neg_hi:[0,0,1]
	v_pk_fma_f32 v[132:133], v[86:87], s[22:23], v[126:127]
	v_pk_mul_f32 v[130:131], v[100:101], s[46:47]
	s_mov_b32 s18, s47
	s_mov_b32 s19, s46
	;; [unrolled: 1-line block ×3, first 2 shown]
	v_mov_b32_e32 v90, v98
	v_mov_b32_e32 v98, v153
	;; [unrolled: 1-line block ×3, first 2 shown]
	v_pk_fma_f32 v[138:139], v[88:89], s[18:19], v[130:131] neg_lo:[0,0,1] neg_hi:[0,0,1]
	v_pk_fma_f32 v[136:137], v[88:89], s[18:19], v[130:131]
	s_mov_b32 s57, 0x3f3d2fb0
	s_mov_b32 s64, 0xbf763a35
	v_mov_b32_e32 v91, v152
	v_pk_add_f32 v[76:77], v[134:135], v[76:77]
	v_mov_b32_e32 v139, v137
	v_pk_mul_f32 v[134:135], v[98:99], s[56:57]
	s_mov_b32 s30, s57
	s_mov_b32 s31, s56
	;; [unrolled: 1-line block ×3, first 2 shown]
	v_pk_add_f32 v[76:77], v[138:139], v[76:77]
	v_pk_fma_f32 v[142:143], v[90:91], s[30:31], v[134:135] neg_lo:[0,0,1] neg_hi:[0,0,1]
	v_pk_fma_f32 v[140:141], v[90:91], s[30:31], v[134:135]
	v_pk_mul_f32 v[138:139], v[96:97], s[64:65]
	s_mov_b32 s20, s65
	s_mov_b32 s21, s64
	v_mov_b32_e32 v143, v141
	v_pk_fma_f32 v[158:159], v[92:93], s[20:21], v[138:139] neg_lo:[0,0,1] neg_hi:[0,0,1]
	v_pk_fma_f32 v[144:145], v[92:93], s[20:21], v[138:139]
	v_pk_add_f32 v[76:77], v[142:143], v[76:77]
	v_mov_b32_e32 v159, v145
	s_mov_b32 s68, 0x3eb8f4ab
	v_pk_add_f32 v[72:73], v[158:159], v[76:77]
	v_pk_mul_f32 v[158:159], v[116:117], s[18:19]
	s_mov_b32 s26, s49
	s_mov_b32 s27, s68
	v_pk_fma_f32 v[160:161], v[156:157], s[46:47], v[158:159] neg_lo:[1,0,0] neg_hi:[1,0,0]
	v_pk_fma_f32 v[162:163], v[156:157], s[46:47], v[158:159]
	s_mov_b32 s69, s49
	v_pk_mul_f32 v[164:165], v[80:81], s[26:27]
	v_mov_b32_e32 v161, v163
	v_pk_fma_f32 v[48:49], v[48:49], s[68:69], v[164:165] op_sel:[1,0,0] neg_lo:[1,0,0] neg_hi:[1,0,0]
	v_pk_fma_f32 v[166:167], v[108:109], s[68:69], v[164:165]
	v_pk_add_f32 v[160:161], v[44:45], v[160:161]
	v_mov_b32_e32 v49, v167
	v_pk_add_f32 v[48:49], v[48:49], v[160:161]
	v_pk_mul_f32 v[160:161], v[82:83], s[4:5]
	s_mov_b32 s60, 0xbf4c4adb
	v_pk_fma_f32 v[50:51], v[50:51], s[42:43], v[160:161] op_sel:[1,0,0] neg_lo:[1,0,0] neg_hi:[1,0,0]
	v_pk_fma_f32 v[168:169], v[106:107], s[42:43], v[160:161]
	s_mov_b32 s24, s51
	v_mov_b32_e32 v51, v169
	v_pk_add_f32 v[48:49], v[50:51], v[48:49]
	v_pk_mul_f32 v[50:51], v[84:85], s[30:31]
	s_mov_b32 s25, s60
	v_pk_fma_f32 v[146:147], v[146:147], s[56:57], v[50:51] op_sel:[1,0,0] neg_lo:[1,0,0] neg_hi:[1,0,0]
	v_pk_fma_f32 v[170:171], v[104:105], s[56:57], v[50:51]
	s_mov_b32 s61, s51
	v_mov_b32_e32 v147, v171
	v_pk_add_f32 v[48:49], v[146:147], v[48:49]
	v_pk_mul_f32 v[146:147], v[86:87], s[24:25]
	v_pk_fma_f32 v[50:51], v[104:105], s[56:57], v[50:51] neg_lo:[0,0,1] neg_hi:[0,0,1]
	v_pk_fma_f32 v[148:149], v[148:149], s[60:61], v[146:147] op_sel:[1,0,0] neg_lo:[1,0,0] neg_hi:[1,0,0]
	v_pk_fma_f32 v[172:173], v[102:103], s[60:61], v[146:147]
	v_mov_b32_e32 v171, v51
	v_mov_b32_e32 v149, v173
	v_pk_add_f32 v[48:49], v[148:149], v[48:49]
	v_pk_mul_f32 v[148:149], v[88:89], s[16:17]
	v_pk_fma_f32 v[50:51], v[102:103], s[60:61], v[146:147] neg_lo:[0,0,1] neg_hi:[0,0,1]
	v_pk_fma_f32 v[150:151], v[150:151], s[40:41], v[148:149] op_sel:[1,0,0] neg_lo:[1,0,0] neg_hi:[1,0,0]
	v_pk_fma_f32 v[174:175], v[100:101], s[40:41], v[148:149]
	s_mov_b32 s58, 0x3f7ee86f
	v_mov_b32_e32 v151, v175
	v_pk_add_f32 v[48:49], v[150:151], v[48:49]
	v_pk_mul_f32 v[150:151], v[90:91], s[20:21]
	s_mov_b32 s59, s63
	v_pk_fma_f32 v[152:153], v[152:153], s[64:65], v[150:151] op_sel:[1,0,0] neg_lo:[1,0,0] neg_hi:[1,0,0]
	v_pk_fma_f32 v[176:177], v[98:99], s[64:65], v[150:151]
	v_mov_b32_e32 v173, v51
	v_mov_b32_e32 v153, v177
	v_pk_add_f32 v[152:153], v[152:153], v[48:49]
	v_pk_fma_f32 v[48:49], v[156:157], s[46:47], v[158:159] neg_lo:[0,0,1] neg_hi:[0,0,1]
	v_pk_fma_f32 v[156:157], v[108:109], s[68:69], v[164:165] neg_lo:[0,0,1] neg_hi:[0,0,1]
	v_mov_b32_e32 v163, v49
	v_pk_add_f32 v[48:49], v[44:45], v[162:163]
	v_mov_b32_e32 v167, v157
	v_pk_fma_f32 v[156:157], v[106:107], s[42:43], v[160:161] neg_lo:[0,0,1] neg_hi:[0,0,1]
	v_pk_add_f32 v[48:49], v[166:167], v[48:49]
	v_mov_b32_e32 v169, v157
	v_pk_add_f32 v[48:49], v[168:169], v[48:49]
	v_pk_fma_f32 v[50:51], v[100:101], s[40:41], v[148:149] neg_lo:[0,0,1] neg_hi:[0,0,1]
	v_pk_add_f32 v[48:49], v[170:171], v[48:49]
	v_pk_mul_f32 v[178:179], v[96:97], s[58:59]
	s_mov_b32 s44, s63
	s_mov_b32 s45, s58
	v_pk_add_f32 v[48:49], v[172:173], v[48:49]
	v_mov_b32_e32 v175, v51
	v_pk_fma_f32 v[50:51], v[98:99], s[64:65], v[150:151] neg_lo:[0,0,1] neg_hi:[0,0,1]
	v_pk_add_f32 v[48:49], v[174:175], v[48:49]
	v_mov_b32_e32 v177, v51
	v_pk_fma_f32 v[50:51], v[92:93], s[44:45], v[178:179]
	v_pk_fma_f32 v[146:147], v[92:93], s[44:45], v[178:179] neg_lo:[1,0,0] neg_hi:[1,0,0]
	v_pk_add_f32 v[48:49], v[176:177], v[48:49]
	v_mov_b32_e32 v146, v50
	v_pk_add_f32 v[48:49], v[146:147], v[48:49]
	v_pk_fma_f32 v[146:147], v[92:93], s[44:45], v[178:179] neg_lo:[0,0,1] neg_hi:[0,0,1]
	v_mov_b32_e32 v112, v3
	v_mov_b32_e32 v147, v51
	;; [unrolled: 1-line block ×3, first 2 shown]
	v_pk_add_f32 v[50:51], v[146:147], v[152:153]
	s_barrier
	s_and_saveexec_b64 s[34:35], vcc
	s_cbranch_execz .LBB0_17
; %bb.16:
	v_pk_add_f32 v[46:47], v[46:47], v[44:45]
	s_mov_b32 s36, s49
	v_pk_add_f32 v[46:47], v[52:53], v[46:47]
	v_pk_mul_f32 v[146:147], v[114:115], s[48:49] op_sel_hi:[1,0]
	v_pk_add_f32 v[46:47], v[54:55], v[46:47]
	v_accvgpr_write_b32 a32, v126
	v_pk_add_f32 v[46:47], v[60:61], v[46:47]
	v_accvgpr_write_b32 a33, v127
	v_pk_add_f32 v[46:47], v[62:63], v[46:47]
	v_pk_fma_f32 v[126:127], v[110:111], s[36:37], v[146:147] op_sel:[0,0,1] op_sel_hi:[1,0,0] neg_lo:[0,0,1] neg_hi:[0,0,1]
	v_pk_add_f32 v[46:47], v[64:65], v[46:47]
	s_mov_b32 s71, s57
	v_pk_add_f32 v[46:47], v[66:67], v[46:47]
	s_mov_b32 s39, 0xbf65296c
	;; [unrolled: 2-line block ×5, first 2 shown]
	v_pk_add_f32 v[40:41], v[42:43], v[40:41]
	v_lshlrev_b32_e32 v69, 3, v154
	v_pk_add_f32 v[32:33], v[32:33], v[40:41]
	s_mov_b32 s52, s57
	v_pk_add_f32 v[32:33], v[34:35], v[32:33]
	v_pk_mul_f32 v[152:153], v[108:109], s[62:63]
	v_pk_add_f32 v[8:9], v[8:9], v[32:33]
	v_pk_fma_f32 v[32:33], v[110:111], s[36:37], v[146:147] op_sel:[0,0,1] op_sel_hi:[1,0,0]
	s_mov_b32 s37, 0xbf2c7751
	s_mov_b32 s70, s37
	v_pk_add_f32 v[8:9], v[10:11], v[8:9]
	v_pk_mul_f32 v[10:11], v[108:109], s[70:71]
	s_mov_b32 s36, s57
	v_accvgpr_write_b32 a8, v10
	v_pk_add_f32 v[148:149], v[74:75], v[8:9]
	v_pk_fma_f32 v[8:9], v[80:81], s[36:37], v[10:11]
	v_pk_fma_f32 v[42:43], v[80:81], s[36:37], v[10:11] neg_lo:[1,0,0] neg_hi:[1,0,0]
	v_accvgpr_write_b32 a9, v11
	v_pk_mul_f32 v[10:11], v[106:107], s[72:73]
	v_mov_b32_e32 v42, v8
	v_accvgpr_write_b32 a15, v11
	v_accvgpr_write_b32 a3, v9
	v_pk_fma_f32 v[8:9], v[82:83], s[38:39], v[10:11]
	v_pk_fma_f32 v[52:53], v[82:83], s[38:39], v[10:11] neg_lo:[1,0,0] neg_hi:[1,0,0]
	v_accvgpr_write_b32 a14, v10
	v_pk_mul_f32 v[10:11], v[104:105], s[62:63]
	v_accvgpr_write_b32 a1, v33
	v_accvgpr_write_b32 a19, v11
	v_mov_b32_e32 v33, v127
	v_mov_b32_e32 v52, v8
	v_accvgpr_write_b32 a11, v9
	v_pk_fma_f32 v[8:9], v[84:85], s[6:7], v[10:11]
	v_pk_fma_f32 v[56:57], v[84:85], s[6:7], v[10:11] neg_lo:[1,0,0] neg_hi:[1,0,0]
	v_accvgpr_write_b32 a18, v10
	v_pk_mul_f32 v[10:11], v[102:103], s[64:65]
	v_pk_add_f32 v[40:41], v[44:45], v[32:33]
	v_accvgpr_write_b32 a23, v11
	v_pk_add_f32 v[46:47], v[42:43], v[40:41]
	v_mov_b32_e32 v56, v8
	v_accvgpr_write_b32 a13, v9
	v_pk_fma_f32 v[8:9], v[86:87], s[20:21], v[10:11]
	v_pk_fma_f32 v[60:61], v[86:87], s[20:21], v[10:11] neg_lo:[1,0,0] neg_hi:[1,0,0]
	v_accvgpr_write_b32 a22, v10
	v_pk_mul_f32 v[10:11], v[100:101], s[60:61]
	v_pk_add_f32 v[54:55], v[52:53], v[46:47]
	v_accvgpr_write_b32 a25, v11
	v_pk_add_f32 v[58:59], v[56:57], v[54:55]
	v_mov_b32_e32 v60, v8
	v_accvgpr_write_b32 a17, v9
	v_pk_fma_f32 v[8:9], v[88:89], s[24:25], v[10:11]
	v_pk_fma_f32 v[64:65], v[88:89], s[24:25], v[10:11] neg_lo:[1,0,0] neg_hi:[1,0,0]
	v_accvgpr_write_b32 a24, v10
	v_pk_mul_f32 v[10:11], v[98:99], s[42:43]
	v_pk_add_f32 v[62:63], v[60:61], v[58:59]
	v_mov_b32_e32 v64, v8
	v_accvgpr_write_b32 a21, v9
	v_pk_fma_f32 v[8:9], v[90:91], s[4:5], v[10:11]
	v_pk_fma_f32 v[74:75], v[90:91], s[4:5], v[10:11] neg_lo:[1,0,0] neg_hi:[1,0,0]
	v_pk_add_f32 v[66:67], v[64:65], v[62:63]
	v_mov_b32_e32 v74, v8
	v_pk_add_f32 v[146:147], v[74:75], v[66:67]
	v_pk_mul_f32 v[74:75], v[96:97], s[46:47]
	v_accvgpr_write_b32 a27, v9
	v_pk_fma_f32 v[8:9], v[92:93], s[18:19], v[74:75]
	v_pk_fma_f32 v[150:151], v[92:93], s[18:19], v[74:75] neg_lo:[1,0,0] neg_hi:[1,0,0]
	s_mov_b32 s54, s37
	v_mov_b32_e32 v150, v8
	v_pk_add_f32 v[146:147], v[150:151], v[146:147]
	ds_write2_b64 v69, v[148:149], v[146:147] offset1:1
	v_pk_mul_f32 v[148:149], v[114:115], s[54:55] op_sel_hi:[1,0]
	v_mov_b32_e32 v127, v155
	v_pk_fma_f32 v[146:147], v[110:111], s[52:53], v[148:149] op_sel:[0,0,1] op_sel_hi:[1,0,0]
	v_pk_fma_f32 v[148:149], v[110:111], s[52:53], v[148:149] op_sel:[0,0,1] op_sel_hi:[1,0,0] neg_lo:[0,0,1] neg_hi:[0,0,1]
	v_mov_b32_e32 v150, v146
	v_mov_b32_e32 v151, v149
	v_pk_add_f32 v[154:155], v[44:45], v[150:151]
	v_pk_fma_f32 v[150:151], v[80:81], s[6:7], v[152:153]
	v_pk_fma_f32 v[156:157], v[80:81], s[6:7], v[152:153] neg_lo:[1,0,0] neg_hi:[1,0,0]
	s_mov_b32 s53, 0x3f06c442
	v_mov_b32_e32 v156, v150
	v_pk_add_f32 v[158:159], v[156:157], v[154:155]
	v_pk_mul_f32 v[156:157], v[106:107], s[60:61]
	s_mov_b32 s76, s53
	v_pk_fma_f32 v[154:155], v[82:83], s[24:25], v[156:157]
	v_pk_fma_f32 v[160:161], v[82:83], s[24:25], v[156:157] neg_lo:[1,0,0] neg_hi:[1,0,0]
	s_mov_b32 s77, s43
	v_mov_b32_e32 v160, v154
	v_pk_add_f32 v[162:163], v[160:161], v[158:159]
	v_pk_mul_f32 v[160:161], v[104:105], s[46:47]
	s_mov_b32 s52, s43
	v_pk_fma_f32 v[158:159], v[84:85], s[18:19], v[160:161]
	v_pk_fma_f32 v[164:165], v[84:85], s[18:19], v[160:161] neg_lo:[1,0,0] neg_hi:[1,0,0]
	s_mov_b32 s55, 0x3f763a35
	v_mov_b32_e32 v164, v158
	v_pk_add_f32 v[166:167], v[164:165], v[162:163]
	v_pk_mul_f32 v[164:165], v[102:103], s[76:77]
	s_mov_b32 s74, s55
	v_pk_fma_f32 v[162:163], v[86:87], s[52:53], v[164:165]
	v_pk_fma_f32 v[168:169], v[86:87], s[52:53], v[164:165] neg_lo:[1,0,0] neg_hi:[1,0,0]
	s_mov_b32 s75, s65
	v_mov_b32_e32 v168, v162
	v_pk_add_f32 v[170:171], v[168:169], v[166:167]
	s_mov_b32 s54, s65
	v_pk_mul_f32 v[168:169], v[100:101], s[74:75]
	s_mov_b32 s78, s39
	v_pk_fma_f32 v[166:167], v[88:89], s[54:55], v[168:169]
	v_pk_fma_f32 v[172:173], v[88:89], s[54:55], v[168:169] neg_lo:[1,0,0] neg_hi:[1,0,0]
	s_mov_b32 s66, s41
	v_mov_b32_e32 v172, v166
	v_pk_add_f32 v[174:175], v[172:173], v[170:171]
	v_pk_mul_f32 v[172:173], v[98:99], s[40:41]
	v_accvgpr_write_b32 a4, v182
	v_pk_fma_f32 v[170:171], v[90:91], s[16:17], v[172:173]
	v_pk_fma_f32 v[176:177], v[90:91], s[16:17], v[172:173] neg_lo:[1,0,0] neg_hi:[1,0,0]
	v_accvgpr_write_b32 a5, v183
	v_mov_b32_e32 v176, v170
	v_pk_add_f32 v[178:179], v[176:177], v[174:175]
	v_pk_mul_f32 v[176:177], v[96:97], s[68:69]
	v_pk_mul_f32 v[66:67], v[108:109], s[60:61]
	v_pk_fma_f32 v[174:175], v[92:93], s[26:27], v[176:177]
	v_pk_fma_f32 v[180:181], v[92:93], s[26:27], v[176:177] neg_lo:[1,0,0] neg_hi:[1,0,0]
	v_pk_fma_f32 v[188:189], v[80:81], s[24:25], v[66:67] neg_lo:[1,0,0] neg_hi:[1,0,0]
	v_mov_b32_e32 v180, v174
	v_pk_add_f32 v[210:211], v[180:181], v[178:179]
	v_pk_mul_f32 v[180:181], v[114:115], s[78:79] op_sel_hi:[1,0]
	s_mov_b32 s79, s47
	v_pk_fma_f32 v[178:179], v[110:111], s[66:67], v[180:181] op_sel:[0,0,1] op_sel_hi:[1,0,0]
	v_pk_fma_f32 v[180:181], v[110:111], s[66:67], v[180:181] op_sel:[0,0,1] op_sel_hi:[1,0,0] neg_lo:[0,0,1] neg_hi:[0,0,1]
	v_mov_b32_e32 v182, v178
	v_mov_b32_e32 v183, v181
	v_pk_add_f32 v[186:187], v[44:45], v[182:183]
	v_pk_fma_f32 v[182:183], v[80:81], s[24:25], v[66:67]
	s_mov_b32 s67, 0x3e3c28d5
	v_mov_b32_e32 v188, v182
	s_mov_b32 s78, s67
	v_pk_add_f32 v[190:191], v[188:189], v[186:187]
	s_mov_b32 s66, s47
	v_pk_mul_f32 v[188:189], v[106:107], s[78:79]
	s_mov_b32 s78, s63
	v_pk_fma_f32 v[186:187], v[82:83], s[66:67], v[188:189]
	v_pk_fma_f32 v[192:193], v[82:83], s[66:67], v[188:189] neg_lo:[1,0,0] neg_hi:[1,0,0]
	v_pk_mul_f32 v[64:65], v[108:109], s[46:47]
	v_mov_b32_e32 v192, v186
	v_pk_add_f32 v[194:195], v[192:193], v[190:191]
	v_pk_mul_f32 v[192:193], v[104:105], s[74:75]
	v_pk_fma_f32 v[220:221], v[80:81], s[18:19], v[64:65] neg_lo:[1,0,0] neg_hi:[1,0,0]
	v_pk_fma_f32 v[190:191], v[84:85], s[54:55], v[192:193]
	v_pk_fma_f32 v[196:197], v[84:85], s[54:55], v[192:193] neg_lo:[1,0,0] neg_hi:[1,0,0]
	v_pk_mul_f32 v[250:251], v[108:109], s[76:77]
	v_mov_b32_e32 v196, v190
	v_pk_add_f32 v[198:199], v[196:197], v[194:195]
	v_pk_mul_f32 v[196:197], v[102:103], s[56:57]
	v_pk_fma_f32 v[60:61], v[80:81], s[52:53], v[250:251]
	v_pk_fma_f32 v[194:195], v[86:87], s[30:31], v[196:197]
	v_pk_fma_f32 v[200:201], v[86:87], s[30:31], v[196:197] neg_lo:[1,0,0] neg_hi:[1,0,0]
	v_pk_fma_f32 v[254:255], v[80:81], s[52:53], v[250:251] neg_lo:[1,0,0] neg_hi:[1,0,0]
	v_mov_b32_e32 v200, v194
	v_pk_add_f32 v[202:203], v[200:201], v[198:199]
	v_pk_mul_f32 v[200:201], v[100:101], s[48:49]
	v_mov_b32_e32 v254, v60
	v_pk_fma_f32 v[198:199], v[88:89], s[22:23], v[200:201]
	v_pk_fma_f32 v[204:205], v[88:89], s[22:23], v[200:201] neg_lo:[1,0,0] neg_hi:[1,0,0]
	v_accvgpr_write_b32 a31, v9
	v_mov_b32_e32 v204, v198
	v_pk_add_f32 v[206:207], v[204:205], v[202:203]
	v_pk_mul_f32 v[204:205], v[98:99], s[62:63]
	v_mov_b64_e32 v[32:33], v[70:71]
	v_pk_fma_f32 v[202:203], v[90:91], s[6:7], v[204:205]
	v_pk_fma_f32 v[208:209], v[90:91], s[6:7], v[204:205] neg_lo:[1,0,0] neg_hi:[1,0,0]
	v_mov_b64_e32 v[34:35], v[124:125]
	v_mov_b32_e32 v208, v202
	v_pk_add_f32 v[212:213], v[208:209], v[206:207]
	v_pk_mul_f32 v[208:209], v[96:97], s[42:43]
	v_mov_b64_e32 v[40:41], v[130:131]
	v_pk_fma_f32 v[206:207], v[92:93], s[4:5], v[208:209]
	v_pk_fma_f32 v[214:215], v[92:93], s[4:5], v[208:209] neg_lo:[1,0,0] neg_hi:[1,0,0]
	v_mov_b64_e32 v[42:43], v[138:139]
	v_mov_b32_e32 v214, v206
	v_pk_add_f32 v[212:213], v[214:215], v[212:213]
	ds_write2_b64 v69, v[210:211], v[212:213] offset0:2 offset1:3
	v_pk_mul_f32 v[212:213], v[114:115], s[62:63] op_sel_hi:[1,0]
	v_pk_mul_f32 v[108:109], v[108:109], s[74:75]
	v_pk_fma_f32 v[210:211], v[110:111], s[78:79], v[212:213] op_sel:[0,0,1] op_sel_hi:[1,0,0]
	v_pk_fma_f32 v[212:213], v[110:111], s[78:79], v[212:213] op_sel:[0,0,1] op_sel_hi:[1,0,0] neg_lo:[0,0,1] neg_hi:[0,0,1]
	v_mov_b32_e32 v214, v210
	v_mov_b32_e32 v215, v213
	v_pk_add_f32 v[218:219], v[44:45], v[214:215]
	v_pk_fma_f32 v[214:215], v[80:81], s[18:19], v[64:65]
	v_accvgpr_write_b32 a6, v72
	v_mov_b32_e32 v220, v214
	v_pk_add_f32 v[222:223], v[220:221], v[218:219]
	v_pk_mul_f32 v[220:221], v[106:107], s[74:75]
	v_accvgpr_write_b32 a7, v73
	v_pk_fma_f32 v[218:219], v[82:83], s[54:55], v[220:221]
	v_pk_fma_f32 v[224:225], v[82:83], s[54:55], v[220:221] neg_lo:[1,0,0] neg_hi:[1,0,0]
	v_accvgpr_write_b32 a29, v11
	v_mov_b32_e32 v224, v218
	v_pk_add_f32 v[226:227], v[224:225], v[222:223]
	v_pk_mul_f32 v[224:225], v[104:105], s[68:69]
	v_pk_mul_f32 v[116:117], v[116:117], s[4:5]
	v_pk_fma_f32 v[222:223], v[84:85], s[26:27], v[224:225]
	v_pk_fma_f32 v[228:229], v[84:85], s[26:27], v[224:225] neg_lo:[1,0,0] neg_hi:[1,0,0]
	v_accvgpr_write_b32 a28, v10
	v_mov_b32_e32 v228, v222
	v_pk_add_f32 v[230:231], v[228:229], v[226:227]
	v_pk_mul_f32 v[228:229], v[102:103], s[72:73]
	v_pk_add_f32 v[116:117], v[78:79], v[116:117] neg_lo:[0,1] neg_hi:[0,1]
	v_pk_fma_f32 v[226:227], v[86:87], s[38:39], v[228:229]
	v_pk_fma_f32 v[232:233], v[86:87], s[38:39], v[228:229] neg_lo:[1,0,0] neg_hi:[1,0,0]
	v_mov_b32_e32 v95, v117
	v_mov_b32_e32 v232, v226
	v_pk_add_f32 v[234:235], v[232:233], v[230:231]
	v_pk_mul_f32 v[232:233], v[100:101], s[42:43]
	v_pk_mul_f32 v[116:117], v[80:81], s[16:17]
	v_pk_fma_f32 v[230:231], v[88:89], s[4:5], v[232:233]
	v_pk_fma_f32 v[236:237], v[88:89], s[4:5], v[232:233] neg_lo:[1,0,0] neg_hi:[1,0,0]
	v_pk_add_f32 v[116:117], v[32:33], v[116:117] neg_lo:[0,1] neg_hi:[0,1]
	v_mov_b32_e32 v236, v230
	v_pk_add_f32 v[238:239], v[236:237], v[234:235]
	v_pk_mul_f32 v[236:237], v[98:99], s[50:51]
	s_mov_b32 s50, s65
	v_pk_fma_f32 v[234:235], v[90:91], s[28:29], v[236:237]
	v_pk_fma_f32 v[240:241], v[90:91], s[28:29], v[236:237] neg_lo:[1,0,0] neg_hi:[1,0,0]
	v_mov_b32_e32 v119, v117
	v_mov_b32_e32 v240, v234
	v_pk_add_f32 v[242:243], v[240:241], v[238:239]
	v_pk_mul_f32 v[240:241], v[96:97], s[56:57]
	v_pk_mul_f32 v[116:117], v[84:85], s[28:29]
	v_pk_fma_f32 v[238:239], v[92:93], s[30:31], v[240:241]
	v_pk_fma_f32 v[244:245], v[92:93], s[30:31], v[240:241] neg_lo:[1,0,0] neg_hi:[1,0,0]
	v_pk_add_f32 v[94:95], v[44:45], v[94:95]
	v_mov_b32_e32 v244, v238
	v_pk_add_f32 v[242:243], v[244:245], v[242:243]
	v_pk_mul_f32 v[244:245], v[114:115], s[64:65] op_sel_hi:[1,0]
	v_accvgpr_read_b32 v32, a32
	v_pk_fma_f32 v[62:63], v[110:111], s[50:51], v[244:245] op_sel:[0,0,1] op_sel_hi:[1,0,0]
	v_pk_fma_f32 v[244:245], v[110:111], s[50:51], v[244:245] op_sel:[0,0,1] op_sel_hi:[1,0,0] neg_lo:[0,0,1] neg_hi:[0,0,1]
	v_mov_b32_e32 v248, v62
	v_mov_b32_e32 v249, v245
	v_pk_add_f32 v[248:249], v[44:45], v[248:249]
	s_mov_b32 s50, s51
	v_pk_add_f32 v[248:249], v[254:255], v[248:249]
	v_pk_mul_f32 v[254:255], v[106:107], s[56:57]
	v_pk_mul_f32 v[106:107], v[106:107], s[48:49]
	v_pk_fma_f32 v[58:59], v[82:83], s[30:31], v[254:255]
	v_pk_fma_f32 v[8:9], v[82:83], s[30:31], v[254:255] neg_lo:[1,0,0] neg_hi:[1,0,0]
	v_pk_fma_f32 v[76:77], v[82:83], s[22:23], v[106:107]
	v_mov_b32_e32 v8, v58
	v_pk_add_f32 v[8:9], v[8:9], v[248:249]
	v_pk_mul_f32 v[248:249], v[104:105], s[72:73]
	v_pk_mul_f32 v[104:105], v[104:105], s[42:43]
	v_pk_fma_f32 v[56:57], v[84:85], s[38:39], v[248:249]
	v_pk_fma_f32 v[70:71], v[84:85], s[38:39], v[248:249] neg_lo:[1,0,0] neg_hi:[1,0,0]
	v_pk_fma_f32 v[72:73], v[84:85], s[4:5], v[104:105]
	v_mov_b32_e32 v70, v56
	;; [unrolled: 7-line block ×6, first 2 shown]
	v_pk_add_f32 v[8:9], v[138:139], v[8:9]
	ds_write2_b64 v69, v[242:243], v[8:9] offset0:4 offset1:5
	v_pk_mul_f32 v[8:9], v[114:115], s[60:61] op_sel_hi:[1,0]
	v_pk_fma_f32 v[138:139], v[80:81], s[54:55], v[108:109]
	v_pk_fma_f32 v[114:115], v[110:111], s[50:51], v[8:9] op_sel:[0,0,1] op_sel_hi:[1,0,0]
	v_pk_fma_f32 v[8:9], v[110:111], s[50:51], v[8:9] op_sel:[0,0,1] op_sel_hi:[1,0,0] neg_lo:[0,0,1] neg_hi:[0,0,1]
	v_mov_b32_e32 v110, v114
	v_mov_b32_e32 v111, v9
	v_pk_fma_f32 v[242:243], v[80:81], s[54:55], v[108:109] neg_lo:[1,0,0] neg_hi:[1,0,0]
	v_pk_add_f32 v[110:111], v[44:45], v[110:111]
	v_mov_b32_e32 v242, v138
	v_pk_add_f32 v[110:111], v[242:243], v[110:111]
	v_pk_fma_f32 v[242:243], v[82:83], s[22:23], v[106:107] neg_lo:[1,0,0] neg_hi:[1,0,0]
	v_pk_add_f32 v[94:95], v[118:119], v[94:95]
	v_mov_b32_e32 v242, v76
	v_pk_add_f32 v[110:111], v[242:243], v[110:111]
	v_pk_fma_f32 v[242:243], v[84:85], s[4:5], v[104:105] neg_lo:[1,0,0] neg_hi:[1,0,0]
	v_pk_mul_f32 v[118:119], v[86:87], s[22:23]
	v_mov_b32_e32 v242, v72
	v_pk_add_f32 v[110:111], v[242:243], v[110:111]
	v_pk_fma_f32 v[242:243], v[86:87], s[44:45], v[102:103] neg_lo:[1,0,0] neg_hi:[1,0,0]
	v_pk_add_f32 v[116:117], v[34:35], v[116:117] neg_lo:[0,1] neg_hi:[0,1]
	v_mov_b32_e32 v242, v216
	v_pk_add_f32 v[110:111], v[242:243], v[110:111]
	v_pk_fma_f32 v[242:243], v[88:89], s[36:37], v[100:101] neg_lo:[1,0,0] neg_hi:[1,0,0]
	v_accvgpr_read_b32 v33, a33
	v_mov_b32_e32 v242, v246
	v_pk_add_f32 v[110:111], v[242:243], v[110:111]
	v_pk_fma_f32 v[242:243], v[90:91], s[18:19], v[98:99] neg_lo:[1,0,0] neg_hi:[1,0,0]
	v_pk_mul_f32 v[78:79], v[88:89], s[18:19]
	v_mov_b32_e32 v242, v252
	v_pk_add_f32 v[110:111], v[242:243], v[110:111]
	v_pk_fma_f32 v[242:243], v[92:93], s[16:17], v[96:97] neg_lo:[1,0,0] neg_hi:[1,0,0]
	v_mov_b32_e32 v129, v117
	v_mov_b32_e32 v242, v10
	v_pk_add_f32 v[110:111], v[242:243], v[110:111]
	v_pk_mul_f32 v[242:243], v[82:83], s[6:7]
	v_pk_add_f32 v[116:117], v[32:33], v[118:119] neg_lo:[0,1] neg_hi:[0,1]
	v_pk_add_f32 v[242:243], v[120:121], v[242:243] neg_lo:[0,1] neg_hi:[0,1]
	v_mov_b32_e32 v133, v117
	v_mov_b32_e32 v123, v243
	v_pk_add_f32 v[94:95], v[122:123], v[94:95]
	v_pk_add_f32 v[78:79], v[40:41], v[78:79] neg_lo:[0,1] neg_hi:[0,1]
	v_pk_add_f32 v[94:95], v[128:129], v[94:95]
	v_pk_mul_f32 v[242:243], v[90:91], s[30:31]
	v_pk_add_f32 v[94:95], v[132:133], v[94:95]
	v_mov_b32_e32 v137, v79
	v_pk_mul_f32 v[122:123], v[92:93], s[20:21]
	v_pk_add_f32 v[78:79], v[136:137], v[94:95]
	v_pk_add_f32 v[94:95], v[134:135], v[242:243] neg_lo:[0,1] neg_hi:[0,1]
	v_mov_b32_e32 v9, v115
	v_mov_b32_e32 v141, v95
	v_pk_add_f32 v[94:95], v[42:43], v[122:123] neg_lo:[0,1] neg_hi:[0,1]
	v_pk_add_f32 v[78:79], v[140:141], v[78:79]
	v_mov_b32_e32 v145, v95
	v_pk_add_f32 v[78:79], v[144:145], v[78:79]
	ds_write2_b64 v69, v[110:111], v[78:79] offset0:6 offset1:7
	ds_write2_b64 v69, v[48:49], v[50:51] offset0:8 offset1:9
	v_pk_fma_f32 v[78:79], v[80:81], s[54:55], v[108:109] neg_lo:[0,0,1] neg_hi:[0,0,1]
	v_pk_add_f32 v[8:9], v[44:45], v[8:9]
	v_mov_b32_e32 v79, v139
	v_pk_add_f32 v[8:9], v[78:79], v[8:9]
	v_pk_fma_f32 v[78:79], v[82:83], s[22:23], v[106:107] neg_lo:[0,0,1] neg_hi:[0,0,1]
	v_mov_b32_e32 v245, v63
	v_mov_b32_e32 v79, v77
	v_pk_fma_f32 v[76:77], v[84:85], s[4:5], v[104:105] neg_lo:[0,0,1] neg_hi:[0,0,1]
	v_pk_add_f32 v[8:9], v[78:79], v[8:9]
	v_mov_b32_e32 v77, v73
	v_pk_fma_f32 v[72:73], v[86:87], s[44:45], v[102:103] neg_lo:[0,0,1] neg_hi:[0,0,1]
	v_pk_add_f32 v[8:9], v[76:77], v[8:9]
	v_mov_b32_e32 v73, v217
	v_pk_add_f32 v[8:9], v[72:73], v[8:9]
	v_pk_fma_f32 v[72:73], v[88:89], s[36:37], v[100:101] neg_lo:[0,0,1] neg_hi:[0,0,1]
	v_mov_b32_e32 v213, v211
	v_mov_b32_e32 v73, v247
	v_pk_add_f32 v[8:9], v[72:73], v[8:9]
	v_pk_fma_f32 v[72:73], v[90:91], s[18:19], v[98:99] neg_lo:[0,0,1] neg_hi:[0,0,1]
	v_pk_fma_f32 v[32:33], v[80:81], s[18:19], v[64:65] neg_lo:[0,0,1] neg_hi:[0,0,1]
	v_mov_b32_e32 v73, v253
	v_pk_add_f32 v[8:9], v[72:73], v[8:9]
	v_pk_fma_f32 v[72:73], v[92:93], s[16:17], v[96:97] neg_lo:[0,0,1] neg_hi:[0,0,1]
	v_mov_b32_e32 v33, v215
	v_mov_b32_e32 v73, v11
	v_pk_add_f32 v[8:9], v[72:73], v[8:9]
	v_accvgpr_read_b32 v73, a7
	v_accvgpr_read_b32 v72, a6
	v_pk_fma_f32 v[10:11], v[80:81], s[52:53], v[250:251] neg_lo:[0,0,1] neg_hi:[0,0,1]
	ds_write2_b64 v69, v[72:73], v[8:9] offset0:10 offset1:11
	v_pk_add_f32 v[8:9], v[44:45], v[244:245]
	v_mov_b32_e32 v11, v61
	v_pk_add_f32 v[8:9], v[10:11], v[8:9]
	v_pk_fma_f32 v[10:11], v[82:83], s[30:31], v[254:255] neg_lo:[0,0,1] neg_hi:[0,0,1]
	v_mov_b32_e32 v181, v179
	v_mov_b32_e32 v11, v59
	v_pk_add_f32 v[8:9], v[10:11], v[8:9]
	v_pk_fma_f32 v[10:11], v[84:85], s[38:39], v[248:249] neg_lo:[0,0,1] neg_hi:[0,0,1]
	v_mov_b32_e32 v149, v147
	v_mov_b32_e32 v11, v57
	v_pk_add_f32 v[8:9], v[10:11], v[8:9]
	v_pk_fma_f32 v[10:11], v[86:87], s[18:19], v[70:71] neg_lo:[0,0,1] neg_hi:[0,0,1]
	s_nop 0
	v_mov_b32_e32 v11, v55
	v_pk_add_f32 v[8:9], v[10:11], v[8:9]
	v_pk_fma_f32 v[10:11], v[88:89], s[44:45], v[184:185] neg_lo:[0,0,1] neg_hi:[0,0,1]
	s_nop 0
	;; [unrolled: 4-line block ×4, first 2 shown]
	v_mov_b32_e32 v11, v143
	v_pk_add_f32 v[8:9], v[10:11], v[8:9]
	v_pk_add_f32 v[10:11], v[44:45], v[212:213]
	s_nop 0
	v_pk_add_f32 v[10:11], v[32:33], v[10:11]
	v_pk_fma_f32 v[32:33], v[82:83], s[54:55], v[220:221] neg_lo:[0,0,1] neg_hi:[0,0,1]
	s_nop 0
	v_mov_b32_e32 v33, v219
	v_pk_add_f32 v[10:11], v[32:33], v[10:11]
	v_pk_fma_f32 v[32:33], v[84:85], s[26:27], v[224:225] neg_lo:[0,0,1] neg_hi:[0,0,1]
	s_nop 0
	v_mov_b32_e32 v33, v223
	;; [unrolled: 4-line block ×6, first 2 shown]
	v_pk_add_f32 v[10:11], v[32:33], v[10:11]
	ds_write2_b64 v69, v[8:9], v[10:11] offset0:12 offset1:13
	v_pk_fma_f32 v[10:11], v[80:81], s[24:25], v[66:67] neg_lo:[0,0,1] neg_hi:[0,0,1]
	v_pk_add_f32 v[8:9], v[44:45], v[180:181]
	v_mov_b32_e32 v11, v183
	v_pk_add_f32 v[8:9], v[10:11], v[8:9]
	v_pk_fma_f32 v[10:11], v[82:83], s[66:67], v[188:189] neg_lo:[0,0,1] neg_hi:[0,0,1]
	v_pk_fma_f32 v[32:33], v[80:81], s[6:7], v[152:153] neg_lo:[0,0,1] neg_hi:[0,0,1]
	v_mov_b32_e32 v11, v187
	v_pk_add_f32 v[8:9], v[10:11], v[8:9]
	v_pk_fma_f32 v[10:11], v[84:85], s[54:55], v[192:193] neg_lo:[0,0,1] neg_hi:[0,0,1]
	v_mov_b32_e32 v33, v151
	v_mov_b32_e32 v11, v191
	v_pk_add_f32 v[8:9], v[10:11], v[8:9]
	v_pk_fma_f32 v[10:11], v[86:87], s[30:31], v[196:197] neg_lo:[0,0,1] neg_hi:[0,0,1]
	v_accvgpr_read_b32 v183, a5
	v_mov_b32_e32 v11, v195
	v_pk_add_f32 v[8:9], v[10:11], v[8:9]
	v_pk_fma_f32 v[10:11], v[88:89], s[22:23], v[200:201] neg_lo:[0,0,1] neg_hi:[0,0,1]
	v_accvgpr_read_b32 v180, a0
	v_mov_b32_e32 v11, v199
	v_pk_add_f32 v[8:9], v[10:11], v[8:9]
	v_pk_fma_f32 v[10:11], v[90:91], s[6:7], v[204:205] neg_lo:[0,0,1] neg_hi:[0,0,1]
	v_accvgpr_read_b32 v182, a4
	v_mov_b32_e32 v11, v203
	v_pk_add_f32 v[8:9], v[10:11], v[8:9]
	v_pk_fma_f32 v[10:11], v[92:93], s[4:5], v[208:209] neg_lo:[0,0,1] neg_hi:[0,0,1]
	s_nop 0
	v_mov_b32_e32 v11, v207
	v_pk_add_f32 v[8:9], v[10:11], v[8:9]
	v_pk_add_f32 v[10:11], v[44:45], v[148:149]
	s_nop 0
	v_pk_add_f32 v[10:11], v[32:33], v[10:11]
	v_pk_fma_f32 v[32:33], v[82:83], s[24:25], v[156:157] neg_lo:[0,0,1] neg_hi:[0,0,1]
	s_nop 0
	v_mov_b32_e32 v33, v155
	v_pk_add_f32 v[10:11], v[32:33], v[10:11]
	v_pk_fma_f32 v[32:33], v[84:85], s[18:19], v[160:161] neg_lo:[0,0,1] neg_hi:[0,0,1]
	v_mov_b32_e32 v155, v127
	v_mov_b32_e32 v33, v159
	v_pk_add_f32 v[10:11], v[32:33], v[10:11]
	v_pk_fma_f32 v[32:33], v[86:87], s[52:53], v[164:165] neg_lo:[0,0,1] neg_hi:[0,0,1]
	v_accvgpr_read_b32 v127, a1
	v_mov_b32_e32 v33, v163
	v_pk_add_f32 v[10:11], v[32:33], v[10:11]
	v_pk_fma_f32 v[32:33], v[88:89], s[54:55], v[168:169] neg_lo:[0,0,1] neg_hi:[0,0,1]
	s_nop 0
	v_mov_b32_e32 v33, v167
	v_pk_add_f32 v[10:11], v[32:33], v[10:11]
	v_pk_fma_f32 v[32:33], v[90:91], s[16:17], v[172:173] neg_lo:[0,0,1] neg_hi:[0,0,1]
	s_nop 0
	;; [unrolled: 4-line block ×3, first 2 shown]
	v_mov_b32_e32 v33, v175
	v_pk_add_f32 v[10:11], v[32:33], v[10:11]
	ds_write2_b64 v69, v[8:9], v[10:11] offset0:14 offset1:15
	v_accvgpr_read_b32 v11, a9
	v_accvgpr_read_b32 v10, a8
	v_pk_fma_f32 v[10:11], v[80:81], s[36:37], v[10:11] neg_lo:[0,0,1] neg_hi:[0,0,1]
	v_pk_add_f32 v[8:9], v[44:45], v[126:127]
	v_accvgpr_read_b32 v11, a3
	v_pk_add_f32 v[8:9], v[10:11], v[8:9]
	v_accvgpr_read_b32 v10, a14
	v_accvgpr_read_b32 v11, a15
	v_pk_fma_f32 v[10:11], v[82:83], s[38:39], v[10:11] neg_lo:[0,0,1] neg_hi:[0,0,1]
	s_nop 0
	v_accvgpr_read_b32 v11, a11
	v_pk_add_f32 v[8:9], v[10:11], v[8:9]
	v_accvgpr_read_b32 v10, a18
	v_accvgpr_read_b32 v11, a19
	v_pk_fma_f32 v[10:11], v[84:85], s[6:7], v[10:11] neg_lo:[0,0,1] neg_hi:[0,0,1]
	s_nop 0
	v_accvgpr_read_b32 v11, a13
	v_pk_add_f32 v[8:9], v[10:11], v[8:9]
	v_accvgpr_read_b32 v10, a22
	v_accvgpr_read_b32 v11, a23
	v_pk_fma_f32 v[10:11], v[86:87], s[20:21], v[10:11] neg_lo:[0,0,1] neg_hi:[0,0,1]
	s_nop 0
	v_accvgpr_read_b32 v11, a17
	v_pk_add_f32 v[8:9], v[10:11], v[8:9]
	v_accvgpr_read_b32 v10, a24
	v_accvgpr_read_b32 v11, a25
	v_pk_fma_f32 v[10:11], v[88:89], s[24:25], v[10:11] neg_lo:[0,0,1] neg_hi:[0,0,1]
	s_nop 0
	v_accvgpr_read_b32 v11, a21
	v_pk_add_f32 v[8:9], v[10:11], v[8:9]
	v_accvgpr_read_b32 v10, a28
	v_accvgpr_read_b32 v11, a29
	v_pk_fma_f32 v[10:11], v[90:91], s[4:5], v[10:11] neg_lo:[0,0,1] neg_hi:[0,0,1]
	s_nop 0
	v_accvgpr_read_b32 v11, a27
	v_pk_add_f32 v[8:9], v[10:11], v[8:9]
	v_pk_fma_f32 v[10:11], v[92:93], s[18:19], v[74:75] neg_lo:[0,0,1] neg_hi:[0,0,1]
	s_nop 0
	v_accvgpr_read_b32 v11, a31
	v_pk_add_f32 v[8:9], v[10:11], v[8:9]
	ds_write_b64 v69, v[8:9] offset:128
.LBB0_17:
	s_or_b64 exec, exec, s[34:35]
	s_waitcnt lgkmcnt(0)
	s_barrier
	ds_read2_b64 v[8:11], v68 offset1:187
	v_add_u32_e32 v40, 0xa00, v68
	ds_read2_b64 v[40:43], v40 offset0:54 offset1:241
	v_mov_b32_e32 v52, v13
	v_add_u32_e32 v32, 0x1600, v68
	s_waitcnt lgkmcnt(1)
	v_pk_mul_f32 v[44:45], v[12:13], v[10:11]
	v_mov_b32_e32 v46, v11
	v_pk_mul_f32 v[10:11], v[52:53], v[10:11]
	ds_read2_b64 v[32:35], v32 offset0:44 offset1:231
	v_pk_fma_f32 v[46:47], v[12:13], v[46:47], v[10:11] neg_lo:[0,0,1] neg_hi:[0,0,1]
	v_mov_b32_e32 v12, v15
	s_waitcnt lgkmcnt(1)
	v_mov_b32_e32 v10, v41
	v_pk_mul_f32 v[12:13], v[12:13], v[40:41]
	v_pk_mul_f32 v[52:53], v[14:15], v[40:41]
	v_pk_fma_f32 v[14:15], v[14:15], v[10:11], v[12:13] neg_lo:[0,0,1] neg_hi:[0,0,1]
	v_pk_mul_f32 v[10:11], v[0:1], v[42:43]
	s_waitcnt lgkmcnt(0)
	v_mul_f32_e32 v57, v5, v35
	v_mov_b32_e32 v10, v11
	v_pk_fma_f32 v[40:41], v[0:1], v[42:43], v[10:11]
	v_mov_b32_e32 v10, v43
	v_pk_mul_f32 v[54:55], v[0:1], v[10:11]
	v_mov_b32_e32 v0, v1
	v_pk_mul_f32 v[0:1], v[0:1], v[42:43]
	v_mul_f32_e32 v43, v4, v34
	v_mul_f32_e32 v1, v3, v32
	v_fma_f32 v3, v2, v33, -v1
	v_add_u32_e32 v1, 0x2200, v68
	ds_read2_b64 v[10:13], v1 offset0:34 offset1:221
	v_mov_b32_e32 v42, v44
	v_mov_b32_e32 v56, v45
	v_pk_add_f32 v[42:43], v[42:43], v[56:57]
	v_mov_b32_e32 v56, v52
	v_mov_b32_e32 v52, v7
	s_waitcnt lgkmcnt(0)
	v_pk_mul_f32 v[44:45], v[6:7], v[10:11]
	v_mov_b32_e32 v4, v11
	v_pk_mul_f32 v[10:11], v[52:53], v[10:11]
	v_mov_b32_e32 v57, v44
	v_pk_fma_f32 v[6:7], v[6:7], v[4:5], v[10:11] neg_lo:[0,0,1] neg_hi:[0,0,1]
	v_mov_b32_e32 v4, v183
	v_pk_mul_f32 v[10:11], v[4:5], v[12:13] op_sel:[0,1] op_sel_hi:[1,0]
	v_mov_b32_e32 v44, v53
	v_pk_fma_f32 v[10:11], v[182:183], v[12:13], v[10:11]
	v_pk_mul_f32 v[12:13], v[182:183], v[12:13] op_sel:[0,1] op_sel_hi:[1,0]
	v_pk_add_f32 v[44:45], v[56:57], v[44:45]
	v_mov_b32_e32 v1, v13
	v_sub_f32_e32 v13, v9, v3
	v_mov_b32_e32 v56, v33
	v_mov_b32_e32 v3, v5
	v_mov_b32_e32 v33, v34
	v_mov_b32_e32 v55, v12
	v_mov_b32_e32 v57, v35
	v_pk_mul_f32 v[2:3], v[2:3], v[32:33]
	v_pk_add_f32 v[0:1], v[54:55], v[0:1] neg_lo:[0,1] neg_hi:[0,1]
	v_mov_b32_e32 v4, v45
	v_pk_add_f32 v[6:7], v[14:15], v[6:7] neg_lo:[0,1] neg_hi:[0,1]
	v_mov_b32_e32 v12, v43
	v_pk_fma_f32 v[32:33], v[112:113], v[56:57], v[2:3]
	v_pk_fma_f32 v[2:3], v[112:113], v[56:57], v[2:3] neg_lo:[0,0,1] neg_hi:[0,0,1]
	v_pk_add_f32 v[52:53], v[44:45], v[4:5] neg_lo:[0,1] neg_hi:[0,1]
	v_fma_f32 v4, v14, 2.0, -v6
	v_pk_add_f32 v[14:15], v[42:43], v[12:13] neg_lo:[0,1] neg_hi:[0,1]
	v_mov_b32_e32 v12, v1
	v_mov_b32_e32 v33, v3
	;; [unrolled: 1-line block ×4, first 2 shown]
	v_fma_f32 v11, v44, 2.0, -v52
	v_pk_add_f32 v[44:45], v[0:1], v[12:13] neg_lo:[0,1] neg_hi:[0,1]
	v_pk_add_f32 v[2:3], v[2:3], v[32:33] neg_lo:[0,1] neg_hi:[0,1]
	v_add_f32_e32 v7, v46, v46
	v_fma_f32 v8, v8, 2.0, -v2
	v_mov_b32_e32 v15, v40
	v_mov_b32_e32 v45, v10
	v_sub_f32_e32 v34, v8, v11
	v_pk_add_f32 v[46:47], v[6:7], v[2:3]
	v_pk_add_f32 v[32:33], v[6:7], v[2:3] neg_lo:[0,1] neg_hi:[0,1]
	v_pk_add_f32 v[6:7], v[14:15], v[44:45]
	v_pk_add_f32 v[10:11], v[14:15], v[44:45] neg_lo:[0,1] neg_hi:[0,1]
	v_fma_f32 v1, v0, 2.0, -v44
	v_add_f32_e32 v54, v14, v14
	v_add_f32_e32 v12, v2, v2
	v_mov_b32_e32 v7, v11
	v_fma_f32 v0, v40, 2.0, -v11
	v_mov_b32_e32 v10, v46
	v_mov_b32_e32 v11, v52
	;; [unrolled: 1-line block ×3, first 2 shown]
	v_fma_f32 v42, v42, 2.0, -v14
	v_pk_add_f32 v[14:15], v[12:13], v[10:11] neg_lo:[0,1] neg_hi:[0,1]
	v_pk_add_f32 v[10:11], v[54:55], v[6:7] neg_lo:[0,1] neg_hi:[0,1]
	v_mov_b32_e32 v41, v6
	v_fma_f32 v40, v3, 2.0, -v11
	s_mov_b32 s4, 0x3f3504f3
	v_pk_mul_f32 v[6:7], v[40:41], s[4:5] op_sel_hi:[1,0]
	v_sub_f32_e32 v2, v42, v0
	v_mov_b32_e32 v0, v7
	v_mov_b32_e32 v5, v6
	v_pk_add_f32 v[44:45], v[46:47], v[6:7] op_sel:[0,1] op_sel_hi:[1,0]
	v_pk_add_f32 v[0:1], v[32:33], v[0:1] neg_lo:[0,1] neg_hi:[0,1]
	v_mov_b32_e32 v12, v9
	v_mov_b32_e32 v6, v13
	;; [unrolled: 1-line block ×4, first 2 shown]
	v_pk_mul_f32 v[0:1], v[10:11], s[4:5] op_sel_hi:[1,0]
	v_pk_fma_f32 v[12:13], v[12:13], 2.0, v[6:7] op_sel_hi:[1,0,1] neg_lo:[0,0,1] neg_hi:[0,0,1]
	v_mov_b32_e32 v3, v0
	v_pk_add_f32 v[4:5], v[12:13], v[4:5] neg_lo:[0,1] neg_hi:[0,1]
	v_mov_b32_e32 v43, v33
	v_pk_add_f32 v[6:7], v[4:5], v[2:3] neg_lo:[0,1] neg_hi:[0,1]
	v_mov_b32_e32 v9, v12
	v_mov_b32_e32 v35, v4
	;; [unrolled: 1-line block ×4, first 2 shown]
	v_pk_fma_f32 v[0:1], v[8:9], 2.0, v[34:35] op_sel_hi:[1,0,1] neg_lo:[0,0,1] neg_hi:[0,0,1]
	v_pk_fma_f32 v[2:3], v[42:43], 2.0, v[2:3] op_sel_hi:[1,0,1] neg_lo:[0,0,1] neg_hi:[0,0,1]
	v_pk_fma_f32 v[8:9], v[10:11], s[4:5], v[14:15] op_sel_hi:[1,0,1]
	v_pk_add_f32 v[4:5], v[0:1], v[2:3] neg_lo:[0,1] neg_hi:[0,1]
	v_pk_fma_f32 v[2:3], v[10:11], s[4:5], v[14:15] op_sel_hi:[1,0,1] neg_lo:[1,0,0] neg_hi:[1,0,0]
	v_mov_b32_e32 v33, v34
	v_pk_fma_f32 v[10:11], v[40:41], s[4:5], v[2:3] op_sel_hi:[1,0,1]
	v_pk_fma_f32 v[8:9], v[40:41], s[4:5], v[8:9] op_sel_hi:[1,0,1] neg_lo:[1,0,0] neg_hi:[1,0,0]
	v_pk_add_f32 v[32:33], v[32:33], v[44:45]
	v_mov_b32_e32 v12, v14
	v_mov_b32_e32 v11, v7
	;; [unrolled: 1-line block ×6, first 2 shown]
	v_pk_fma_f32 v[2:3], v[12:13], 2.0, v[10:11] op_sel_hi:[1,0,1] neg_lo:[0,0,1] neg_hi:[0,0,1]
	v_pk_fma_f32 v[12:13], v[34:35], 2.0, v[40:41] op_sel_hi:[1,0,1] neg_lo:[0,0,1] neg_hi:[0,0,1]
	;; [unrolled: 1-line block ×4, first 2 shown]
	s_barrier
	ds_write2_b64 v155, v[0:1], v[2:3] offset1:17
	ds_write2_b64 v155, v[12:13], v[14:15] offset0:34 offset1:51
	ds_write2_b64 v155, v[4:5], v[10:11] offset0:68 offset1:85
	ds_write2_b64 v155, v[40:41], v[8:9] offset0:102 offset1:119
	s_waitcnt lgkmcnt(0)
	s_barrier
	s_and_saveexec_b64 s[4:5], s[2:3]
	s_xor_b64 s[2:3], exec, s[4:5]
	s_cbranch_execnz .LBB0_24
; %bb.18:
	s_andn2_saveexec_b64 s[2:3], s[2:3]
	s_cbranch_execnz .LBB0_25
.LBB0_19:
	s_or_b64 exec, exec, s[2:3]
	s_and_saveexec_b64 s[2:3], s[0:1]
	s_cbranch_execz .LBB0_21
.LBB0_20:
	s_waitcnt lgkmcnt(0)
	v_pk_mul_f32 v[34:35], v[38:39], v[72:73] op_sel:[0,1]
	v_pk_mul_f32 v[42:43], v[36:37], v[50:51] op_sel:[0,1]
	v_pk_fma_f32 v[58:59], v[38:39], v[72:73], v[34:35] op_sel:[0,0,1] op_sel_hi:[1,1,0]
	v_pk_fma_f32 v[34:35], v[38:39], v[72:73], v[34:35] op_sel:[0,0,1] op_sel_hi:[1,0,0] neg_lo:[1,0,0] neg_hi:[1,0,0]
	v_pk_mul_f32 v[40:41], v[18:19], v[12:13] op_sel:[0,1]
	v_mov_b32_e32 v59, v35
	v_pk_fma_f32 v[34:35], v[36:37], v[50:51], v[42:43] op_sel:[0,0,1] op_sel_hi:[1,1,0]
	v_pk_fma_f32 v[36:37], v[36:37], v[50:51], v[42:43] op_sel:[0,0,1] op_sel_hi:[1,0,0] neg_lo:[1,0,0] neg_hi:[1,0,0]
	v_pk_mul_f32 v[46:47], v[30:31], v[48:49] op_sel:[0,1]
	v_mov_b32_e32 v35, v37
	;; [unrolled: 4-line block ×5, first 2 shown]
	v_pk_fma_f32 v[14:15], v[28:29], v[32:33], v[54:55] op_sel:[0,0,1] op_sel_hi:[1,1,0]
	v_pk_fma_f32 v[24:25], v[28:29], v[32:33], v[54:55] op_sel:[0,0,1] op_sel_hi:[1,0,0] neg_lo:[1,0,0] neg_hi:[1,0,0]
	v_pk_mul_f32 v[56:57], v[20:21], v[6:7] op_sel:[0,1]
	v_pk_mul_f32 v[6:7], v[22:23], v[6:7] op_sel_hi:[1,0]
	v_mov_b32_e32 v15, v25
	v_pk_fma_f32 v[24:25], v[26:27], v[4:5], v[52:53] op_sel:[0,0,1] op_sel_hi:[1,1,0]
	v_pk_fma_f32 v[4:5], v[26:27], v[4:5], v[52:53] op_sel:[0,0,1] op_sel_hi:[1,0,0] neg_lo:[1,0,0] neg_hi:[1,0,0]
	v_pk_mul_f32 v[8:9], v[16:17], v[2:3] op_sel:[0,1]
	v_mov_b32_e32 v25, v5
	v_pk_fma_f32 v[4:5], v[22:23], v[32:33], v[6:7] op_sel:[0,1,1] op_sel_hi:[1,1,0]
	v_pk_fma_f32 v[6:7], v[22:23], v[32:33], v[6:7] op_sel:[0,1,1] op_sel_hi:[1,1,0] neg_lo:[1,0,0] neg_hi:[1,0,0]
	s_mov_b32 s20, 0xbf0a6770
	v_mov_b32_e32 v5, v7
	v_pk_fma_f32 v[6:7], v[20:21], v[10:11], v[56:57] op_sel:[0,0,1] op_sel_hi:[1,1,0]
	v_pk_fma_f32 v[10:11], v[20:21], v[10:11], v[56:57] op_sel:[0,0,1] op_sel_hi:[1,0,0] neg_lo:[1,0,0] neg_hi:[1,0,0]
	s_mov_b32 s0, 0x3f575c64
	v_mov_b32_e32 v7, v11
	v_pk_fma_f32 v[10:11], v[16:17], v[2:3], v[8:9] op_sel:[0,0,1] op_sel_hi:[1,1,0]
	v_pk_fma_f32 v[2:3], v[16:17], v[2:3], v[8:9] op_sel:[0,0,1] op_sel_hi:[1,0,0] neg_lo:[1,0,0] neg_hi:[1,0,0]
	v_pk_add_f32 v[16:17], v[36:37], v[34:35] neg_lo:[0,1] neg_hi:[0,1]
	v_mov_b32_e32 v11, v3
	v_pk_add_f32 v[2:3], v[10:11], v[58:59] neg_lo:[0,1] neg_hi:[0,1]
	v_pk_add_f32 v[8:9], v[58:59], v[10:11]
	v_pk_mul_f32 v[40:41], v[2:3], s[20:21] op_sel_hi:[1,0]
	s_mov_b32 s28, 0xbf68dda4
	v_pk_add_f32 v[20:21], v[34:35], v[36:37]
	v_pk_fma_f32 v[42:43], v[8:9], s[0:1], v[40:41] op_sel:[0,0,1] op_sel_hi:[1,0,0]
	v_pk_fma_f32 v[40:41], v[8:9], s[0:1], v[40:41] op_sel:[0,0,1] op_sel_hi:[1,0,0] neg_lo:[0,0,1] neg_hi:[0,0,1]
	s_mov_b32 s4, 0x3ed4b147
	v_pk_mul_f32 v[46:47], v[16:17], s[28:29] op_sel_hi:[1,0]
	v_mov_b32_e32 v44, v42
	v_mov_b32_e32 v45, v41
	v_pk_fma_f32 v[48:49], v[20:21], s[4:5], v[46:47] op_sel:[0,0,1] op_sel_hi:[1,0,0]
	v_pk_fma_f32 v[46:47], v[20:21], s[4:5], v[46:47] op_sel:[0,0,1] op_sel_hi:[1,0,0] neg_lo:[0,0,1] neg_hi:[0,0,1]
	v_pk_add_f32 v[22:23], v[18:19], v[12:13] neg_lo:[0,1] neg_hi:[0,1]
	v_pk_add_f32 v[44:45], v[0:1], v[44:45]
	v_mov_b32_e32 v50, v48
	v_mov_b32_e32 v51, v47
	s_mov_b32 s18, 0xbf7d64f0
	v_pk_add_f32 v[26:27], v[12:13], v[18:19]
	v_pk_add_f32 v[44:45], v[50:51], v[44:45]
	s_mov_b32 s6, 0xbe11bafb
	v_pk_mul_f32 v[50:51], v[22:23], s[18:19] op_sel_hi:[1,0]
	v_pk_add_f32 v[10:11], v[0:1], v[10:11]
	v_pk_fma_f32 v[52:53], v[26:27], s[6:7], v[50:51] op_sel:[0,0,1] op_sel_hi:[1,0,0]
	v_pk_fma_f32 v[50:51], v[26:27], s[6:7], v[50:51] op_sel:[0,0,1] op_sel_hi:[1,0,0] neg_lo:[0,0,1] neg_hi:[0,0,1]
	v_pk_add_f32 v[10:11], v[36:37], v[10:11]
	v_pk_add_f32 v[28:29], v[24:25], v[14:15] neg_lo:[0,1] neg_hi:[0,1]
	v_mov_b32_e32 v54, v52
	v_mov_b32_e32 v55, v51
	s_mov_b32 s22, 0xbf4178ce
	v_pk_add_f32 v[10:11], v[18:19], v[10:11]
	v_pk_add_f32 v[30:31], v[14:15], v[24:25]
	;; [unrolled: 1-line block ×3, first 2 shown]
	s_mov_b32 s16, 0xbf27a4f4
	v_pk_mul_f32 v[54:55], v[28:29], s[22:23] op_sel_hi:[1,0]
	v_pk_add_f32 v[10:11], v[24:25], v[10:11]
	v_pk_add_f32 v[32:33], v[6:7], v[4:5] neg_lo:[0,1] neg_hi:[0,1]
	v_pk_add_f32 v[38:39], v[4:5], v[6:7]
	v_pk_fma_f32 v[56:57], v[30:31], s[16:17], v[54:55] op_sel:[0,0,1] op_sel_hi:[1,0,0]
	v_pk_fma_f32 v[54:55], v[30:31], s[16:17], v[54:55] op_sel:[0,0,1] op_sel_hi:[1,0,0] neg_lo:[0,0,1] neg_hi:[0,0,1]
	v_pk_add_f32 v[6:7], v[6:7], v[10:11]
	v_mov_b32_e32 v60, v56
	v_mov_b32_e32 v61, v55
	s_mov_b32 s26, 0xbe903f40
	v_pk_add_f32 v[4:5], v[4:5], v[6:7]
	v_pk_add_f32 v[44:45], v[60:61], v[44:45]
	s_mov_b32 s24, 0xbf75a155
	v_pk_mul_f32 v[60:61], v[32:33], s[26:27] op_sel_hi:[1,0]
	v_pk_add_f32 v[4:5], v[14:15], v[4:5]
	v_pk_fma_f32 v[62:63], v[38:39], s[24:25], v[60:61] op_sel:[0,0,1] op_sel_hi:[1,0,0]
	v_pk_fma_f32 v[60:61], v[38:39], s[24:25], v[60:61] op_sel:[0,0,1] op_sel_hi:[1,0,0] neg_lo:[0,0,1] neg_hi:[0,0,1]
	v_pk_add_f32 v[4:5], v[12:13], v[4:5]
	v_mov_b32_e32 v64, v62
	v_mov_b32_e32 v65, v61
	v_pk_add_f32 v[4:5], v[34:35], v[4:5]
	v_pk_add_f32 v[44:45], v[64:65], v[44:45]
	v_pk_add_f32 v[4:5], v[58:59], v[4:5]
	ds_write2_b64 v68, v[4:5], v[44:45] offset1:136
	v_pk_mul_f32 v[4:5], v[2:3], s[28:29] op_sel_hi:[1,0]
	v_pk_mul_f32 v[12:13], v[16:17], s[22:23] op_sel_hi:[1,0]
	v_pk_fma_f32 v[6:7], v[8:9], s[4:5], v[4:5] op_sel:[0,0,1] op_sel_hi:[1,0,0]
	v_pk_fma_f32 v[4:5], v[8:9], s[4:5], v[4:5] op_sel:[0,0,1] op_sel_hi:[1,0,0] neg_lo:[0,0,1] neg_hi:[0,0,1]
	v_mov_b32_e32 v10, v6
	v_mov_b32_e32 v11, v5
	v_pk_fma_f32 v[14:15], v[20:21], s[16:17], v[12:13] op_sel:[0,0,1] op_sel_hi:[1,0,0]
	v_pk_fma_f32 v[12:13], v[20:21], s[16:17], v[12:13] op_sel:[0,0,1] op_sel_hi:[1,0,0] neg_lo:[0,0,1] neg_hi:[0,0,1]
	v_pk_add_f32 v[10:11], v[0:1], v[10:11]
	v_mov_b32_e32 v18, v14
	v_mov_b32_e32 v19, v13
	s_mov_b32 s28, 0x3e903f40
	v_pk_add_f32 v[10:11], v[18:19], v[10:11]
	v_pk_mul_f32 v[18:19], v[22:23], s[28:29] op_sel_hi:[1,0]
	s_mov_b32 s30, 0x3f7d64f0
	v_pk_fma_f32 v[24:25], v[26:27], s[24:25], v[18:19] op_sel:[0,0,1] op_sel_hi:[1,0,0]
	v_pk_fma_f32 v[18:19], v[26:27], s[24:25], v[18:19] op_sel:[0,0,1] op_sel_hi:[1,0,0] neg_lo:[0,0,1] neg_hi:[0,0,1]
	v_mov_b32_e32 v34, v24
	v_mov_b32_e32 v35, v19
	v_pk_add_f32 v[10:11], v[34:35], v[10:11]
	v_pk_mul_f32 v[34:35], v[28:29], s[30:31] op_sel_hi:[1,0]
	s_mov_b32 s34, 0x3f0a6770
	v_pk_fma_f32 v[36:37], v[30:31], s[6:7], v[34:35] op_sel:[0,0,1] op_sel_hi:[1,0,0]
	v_pk_fma_f32 v[34:35], v[30:31], s[6:7], v[34:35] op_sel:[0,0,1] op_sel_hi:[1,0,0] neg_lo:[0,0,1] neg_hi:[0,0,1]
	v_mov_b32_e32 v44, v36
	v_mov_b32_e32 v45, v35
	v_pk_add_f32 v[10:11], v[44:45], v[10:11]
	v_pk_mul_f32 v[44:45], v[32:33], s[34:35] op_sel_hi:[1,0]
	v_pk_mul_f32 v[66:67], v[16:17], s[28:29] op_sel_hi:[1,0]
	v_pk_fma_f32 v[58:59], v[38:39], s[0:1], v[44:45] op_sel:[0,0,1] op_sel_hi:[1,0,0]
	v_pk_fma_f32 v[44:45], v[38:39], s[0:1], v[44:45] op_sel:[0,0,1] op_sel_hi:[1,0,0] neg_lo:[0,0,1] neg_hi:[0,0,1]
	v_mov_b32_e32 v64, v58
	v_mov_b32_e32 v65, v45
	v_pk_add_f32 v[10:11], v[64:65], v[10:11]
	v_pk_mul_f32 v[64:65], v[2:3], s[18:19] op_sel_hi:[1,0]
	s_mov_b32 s28, 0x3f68dda4
	v_pk_fma_f32 v[76:77], v[8:9], s[6:7], v[64:65] op_sel:[0,0,1] op_sel_hi:[1,0,0]
	v_pk_fma_f32 v[64:65], v[8:9], s[6:7], v[64:65] op_sel:[0,0,1] op_sel_hi:[1,0,0] neg_lo:[0,0,1] neg_hi:[0,0,1]
	v_mov_b32_e32 v78, v76
	v_mov_b32_e32 v79, v65
	v_pk_fma_f32 v[80:81], v[20:21], s[24:25], v[66:67] op_sel:[0,0,1] op_sel_hi:[1,0,0]
	v_pk_fma_f32 v[66:67], v[20:21], s[24:25], v[66:67] op_sel:[0,0,1] op_sel_hi:[1,0,0] neg_lo:[0,0,1] neg_hi:[0,0,1]
	v_pk_mul_f32 v[70:71], v[22:23], s[28:29] op_sel_hi:[1,0]
	v_pk_add_f32 v[78:79], v[0:1], v[78:79]
	v_mov_b32_e32 v82, v80
	v_mov_b32_e32 v83, v67
	v_pk_add_f32 v[78:79], v[82:83], v[78:79]
	v_pk_fma_f32 v[82:83], v[26:27], s[4:5], v[70:71] op_sel:[0,0,1] op_sel_hi:[1,0,0]
	v_pk_fma_f32 v[70:71], v[26:27], s[4:5], v[70:71] op_sel:[0,0,1] op_sel_hi:[1,0,0] neg_lo:[0,0,1] neg_hi:[0,0,1]
	v_pk_mul_f32 v[72:73], v[28:29], s[20:21] op_sel_hi:[1,0]
	v_mov_b32_e32 v84, v82
	v_mov_b32_e32 v85, v71
	v_pk_add_f32 v[78:79], v[84:85], v[78:79]
	v_pk_fma_f32 v[84:85], v[30:31], s[0:1], v[72:73] op_sel:[0,0,1] op_sel_hi:[1,0,0]
	v_pk_fma_f32 v[72:73], v[30:31], s[0:1], v[72:73] op_sel:[0,0,1] op_sel_hi:[1,0,0] neg_lo:[0,0,1] neg_hi:[0,0,1]
	v_pk_mul_f32 v[74:75], v[32:33], s[22:23] op_sel_hi:[1,0]
	v_mov_b32_e32 v86, v84
	v_mov_b32_e32 v87, v73
	v_pk_add_f32 v[78:79], v[86:87], v[78:79]
	v_pk_fma_f32 v[86:87], v[38:39], s[16:17], v[74:75] op_sel:[0,0,1] op_sel_hi:[1,0,0]
	v_pk_fma_f32 v[74:75], v[38:39], s[16:17], v[74:75] op_sel:[0,0,1] op_sel_hi:[1,0,0] neg_lo:[0,0,1] neg_hi:[0,0,1]
	v_mov_b32_e32 v88, v86
	v_mov_b32_e32 v89, v75
	v_pk_add_f32 v[78:79], v[88:89], v[78:79]
	v_add_u32_e32 v5, 0x800, v68
	ds_write2_b64 v5, v[10:11], v[78:79] offset0:16 offset1:152
	v_pk_mul_f32 v[10:11], v[2:3], s[22:23] op_sel_hi:[1,0]
	v_pk_mul_f32 v[78:79], v[16:17], s[30:31] op_sel_hi:[1,0]
	v_pk_fma_f32 v[94:95], v[8:9], s[16:17], v[10:11] op_sel:[0,0,1] op_sel_hi:[1,0,0]
	v_pk_fma_f32 v[10:11], v[8:9], s[16:17], v[10:11] op_sel:[0,0,1] op_sel_hi:[1,0,0] neg_lo:[0,0,1] neg_hi:[0,0,1]
	v_mov_b32_e32 v96, v94
	v_mov_b32_e32 v97, v11
	v_pk_fma_f32 v[98:99], v[20:21], s[6:7], v[78:79] op_sel:[0,0,1] op_sel_hi:[1,0,0]
	v_pk_fma_f32 v[78:79], v[20:21], s[6:7], v[78:79] op_sel:[0,0,1] op_sel_hi:[1,0,0] neg_lo:[0,0,1] neg_hi:[0,0,1]
	v_pk_mul_f32 v[88:89], v[22:23], s[20:21] op_sel_hi:[1,0]
	v_pk_add_f32 v[96:97], v[0:1], v[96:97]
	v_mov_b32_e32 v100, v98
	v_mov_b32_e32 v101, v79
	v_pk_add_f32 v[96:97], v[100:101], v[96:97]
	v_pk_fma_f32 v[100:101], v[26:27], s[0:1], v[88:89] op_sel:[0,0,1] op_sel_hi:[1,0,0]
	v_pk_fma_f32 v[88:89], v[26:27], s[0:1], v[88:89] op_sel:[0,0,1] op_sel_hi:[1,0,0] neg_lo:[0,0,1] neg_hi:[0,0,1]
	v_pk_mul_f32 v[90:91], v[28:29], s[26:27] op_sel_hi:[1,0]
	v_mov_b32_e32 v102, v100
	v_mov_b32_e32 v103, v89
	v_pk_add_f32 v[96:97], v[102:103], v[96:97]
	v_pk_fma_f32 v[102:103], v[30:31], s[24:25], v[90:91] op_sel:[0,0,1] op_sel_hi:[1,0,0]
	v_pk_fma_f32 v[90:91], v[30:31], s[24:25], v[90:91] op_sel:[0,0,1] op_sel_hi:[1,0,0] neg_lo:[0,0,1] neg_hi:[0,0,1]
	v_pk_mul_f32 v[92:93], v[32:33], s[28:29] op_sel_hi:[1,0]
	v_mov_b32_e32 v104, v102
	v_mov_b32_e32 v105, v91
	v_pk_add_f32 v[96:97], v[104:105], v[96:97]
	v_pk_fma_f32 v[104:105], v[38:39], s[4:5], v[92:93] op_sel:[0,0,1] op_sel_hi:[1,0,0]
	v_pk_fma_f32 v[92:93], v[38:39], s[4:5], v[92:93] op_sel:[0,0,1] op_sel_hi:[1,0,0] neg_lo:[0,0,1] neg_hi:[0,0,1]
	v_mov_b32_e32 v106, v104
	v_mov_b32_e32 v107, v93
	v_pk_mul_f32 v[2:3], v[2:3], s[26:27] op_sel_hi:[1,0]
	v_pk_add_f32 v[96:97], v[106:107], v[96:97]
	v_pk_mul_f32 v[16:17], v[16:17], s[34:35] op_sel_hi:[1,0]
	v_pk_fma_f32 v[106:107], v[8:9], s[24:25], v[2:3] op_sel:[0,0,1] op_sel_hi:[1,0,0]
	v_pk_fma_f32 v[2:3], v[8:9], s[24:25], v[2:3] op_sel:[0,0,1] op_sel_hi:[1,0,0] neg_lo:[0,0,1] neg_hi:[0,0,1]
	v_mov_b32_e32 v8, v106
	v_mov_b32_e32 v9, v3
	v_pk_fma_f32 v[108:109], v[20:21], s[0:1], v[16:17] op_sel:[0,0,1] op_sel_hi:[1,0,0]
	v_pk_fma_f32 v[16:17], v[20:21], s[0:1], v[16:17] op_sel:[0,0,1] op_sel_hi:[1,0,0] neg_lo:[0,0,1] neg_hi:[0,0,1]
	v_pk_mul_f32 v[22:23], v[22:23], s[22:23] op_sel_hi:[1,0]
	v_pk_add_f32 v[8:9], v[0:1], v[8:9]
	v_mov_b32_e32 v20, v108
	v_mov_b32_e32 v21, v17
	v_pk_add_f32 v[8:9], v[20:21], v[8:9]
	v_pk_fma_f32 v[20:21], v[26:27], s[16:17], v[22:23] op_sel:[0,0,1] op_sel_hi:[1,0,0]
	v_pk_fma_f32 v[22:23], v[26:27], s[16:17], v[22:23] op_sel:[0,0,1] op_sel_hi:[1,0,0] neg_lo:[0,0,1] neg_hi:[0,0,1]
	v_pk_mul_f32 v[28:29], v[28:29], s[28:29] op_sel_hi:[1,0]
	v_mov_b32_e32 v26, v20
	v_mov_b32_e32 v27, v23
	v_pk_add_f32 v[8:9], v[26:27], v[8:9]
	v_pk_fma_f32 v[26:27], v[30:31], s[4:5], v[28:29] op_sel:[0,0,1] op_sel_hi:[1,0,0]
	v_pk_fma_f32 v[28:29], v[30:31], s[4:5], v[28:29] op_sel:[0,0,1] op_sel_hi:[1,0,0] neg_lo:[0,0,1] neg_hi:[0,0,1]
	v_pk_mul_f32 v[32:33], v[32:33], s[18:19] op_sel_hi:[1,0]
	v_mov_b32_e32 v30, v26
	v_mov_b32_e32 v31, v29
	v_pk_add_f32 v[8:9], v[30:31], v[8:9]
	v_pk_fma_f32 v[30:31], v[38:39], s[6:7], v[32:33] op_sel:[0,0,1] op_sel_hi:[1,0,0]
	v_pk_fma_f32 v[32:33], v[38:39], s[6:7], v[32:33] op_sel:[0,0,1] op_sel_hi:[1,0,0] neg_lo:[0,0,1] neg_hi:[0,0,1]
	v_mov_b32_e32 v38, v30
	v_mov_b32_e32 v39, v33
	v_pk_add_f32 v[8:9], v[38:39], v[8:9]
	v_add_u32_e32 v3, 0x1000, v68
	ds_write2_b64 v3, v[96:97], v[8:9] offset0:32 offset1:168
	v_mov_b32_e32 v3, v107
	v_mov_b32_e32 v11, v95
	v_pk_add_f32 v[2:3], v[0:1], v[2:3]
	v_mov_b32_e32 v17, v109
	v_pk_add_f32 v[8:9], v[0:1], v[10:11]
	;; [unrolled: 2-line block ×9, first 2 shown]
	v_pk_add_f32 v[8:9], v[92:93], v[8:9]
	v_add_u32_e32 v5, 0x1800, v68
	ds_write2_b64 v5, v[2:3], v[8:9] offset0:48 offset1:184
	v_mov_b32_e32 v65, v77
	v_mov_b32_e32 v5, v7
	v_mov_b32_e32 v41, v43
	v_pk_add_f32 v[2:3], v[0:1], v[64:65]
	v_mov_b32_e32 v67, v81
	v_pk_add_f32 v[4:5], v[0:1], v[4:5]
	v_mov_b32_e32 v13, v15
	;; [unrolled: 2-line block ×12, first 2 shown]
	v_pk_add_f32 v[2:3], v[74:75], v[2:3]
	v_pk_add_f32 v[4:5], v[44:45], v[4:5]
	v_add_u32_e32 v6, 0x2000, v68
	v_pk_add_f32 v[0:1], v[60:61], v[0:1]
	ds_write2_b64 v6, v[2:3], v[4:5] offset0:64 offset1:200
	ds_write_b64 v68, v[0:1] offset:10880
.LBB0_21:
	s_or_b64 exec, exec, s[2:3]
	s_waitcnt lgkmcnt(0)
	s_barrier
	s_and_b64 exec, exec, vcc
	s_cbranch_execz .LBB0_23
; %bb.22:
	global_load_dwordx2 v[2:3], v68, s[12:13]
	ds_read_b64 v[4:5], v68
	v_accvgpr_read_b32 v14, a2
	v_mad_u64_u32 v[6:7], s[0:1], s10, v14, 0
	v_mad_u64_u32 v[8:9], s[2:3], s8, v180, 0
	v_mov_b32_e32 v10, v7
	v_mov_b32_e32 v12, v9
	v_mad_u64_u32 v[10:11], s[2:3], s11, v14, v[10:11]
	v_mov_b32_e32 v0, s14
	v_mov_b32_e32 v1, s15
	;; [unrolled: 3-line block ×3, first 2 shown]
	v_lshl_add_u64 v[0:1], v[6:7], 3, v[0:1]
	v_lshl_add_u64 v[6:7], v[8:9], 3, v[0:1]
	s_mov_b32 s0, 0xb8d015e7
	s_mov_b32 s1, 0x3f45e75b
	v_mov_b32_e32 v14, 0x2c0
	s_mul_i32 s2, s9, 0x2c0
	v_mov_b32_e32 v69, 0
	s_movk_i32 s3, 0x1000
	s_waitcnt vmcnt(0) lgkmcnt(0)
	v_mul_f32_e32 v8, v5, v3
	v_mul_f32_e32 v3, v4, v3
	v_fmac_f32_e32 v8, v4, v2
	v_fma_f32 v4, v2, v5, -v3
	v_cvt_f64_f32_e32 v[2:3], v8
	v_cvt_f64_f32_e32 v[4:5], v4
	v_mul_f64 v[2:3], v[2:3], s[0:1]
	v_mul_f64 v[4:5], v[4:5], s[0:1]
	v_cvt_f32_f64_e32 v2, v[2:3]
	v_cvt_f32_f64_e32 v3, v[4:5]
	global_store_dwordx2 v[6:7], v[2:3], off
	global_load_dwordx2 v[8:9], v68, s[12:13] offset:704
	ds_read2_b64 v[2:5], v68 offset0:88 offset1:176
	v_mad_u64_u32 v[6:7], s[4:5], s8, v14, v[6:7]
	v_add_u32_e32 v7, s2, v7
	s_waitcnt vmcnt(0) lgkmcnt(0)
	v_mul_f32_e32 v10, v3, v9
	v_mul_f32_e32 v9, v2, v9
	v_fmac_f32_e32 v10, v2, v8
	v_fma_f32 v8, v8, v3, -v9
	v_cvt_f64_f32_e32 v[2:3], v10
	v_cvt_f64_f32_e32 v[8:9], v8
	v_mul_f64 v[2:3], v[2:3], s[0:1]
	v_mul_f64 v[8:9], v[8:9], s[0:1]
	v_cvt_f32_f64_e32 v2, v[2:3]
	v_cvt_f32_f64_e32 v3, v[8:9]
	global_store_dwordx2 v[6:7], v[2:3], off
	global_load_dwordx2 v[2:3], v68, s[12:13] offset:1408
	v_mad_u64_u32 v[6:7], s[4:5], s8, v14, v[6:7]
	v_add_u32_e32 v7, s2, v7
	s_waitcnt vmcnt(0)
	v_mul_f32_e32 v8, v5, v3
	v_mul_f32_e32 v3, v4, v3
	v_fmac_f32_e32 v8, v4, v2
	v_fma_f32 v4, v2, v5, -v3
	v_cvt_f64_f32_e32 v[2:3], v8
	v_cvt_f64_f32_e32 v[4:5], v4
	v_mul_f64 v[2:3], v[2:3], s[0:1]
	v_mul_f64 v[4:5], v[4:5], s[0:1]
	v_cvt_f32_f64_e32 v2, v[2:3]
	v_cvt_f32_f64_e32 v3, v[4:5]
	global_store_dwordx2 v[6:7], v[2:3], off
	global_load_dwordx2 v[8:9], v68, s[12:13] offset:2112
	v_add_u32_e32 v2, 0x800, v68
	ds_read2_b64 v[2:5], v2 offset0:8 offset1:96
	v_mad_u64_u32 v[6:7], s[4:5], s8, v14, v[6:7]
	v_add_u32_e32 v7, s2, v7
	s_waitcnt vmcnt(0) lgkmcnt(0)
	v_mul_f32_e32 v10, v3, v9
	v_mul_f32_e32 v9, v2, v9
	v_fmac_f32_e32 v10, v2, v8
	v_fma_f32 v8, v8, v3, -v9
	v_cvt_f64_f32_e32 v[2:3], v10
	v_cvt_f64_f32_e32 v[8:9], v8
	v_mul_f64 v[2:3], v[2:3], s[0:1]
	v_mul_f64 v[8:9], v[8:9], s[0:1]
	v_cvt_f32_f64_e32 v2, v[2:3]
	v_cvt_f32_f64_e32 v3, v[8:9]
	global_store_dwordx2 v[6:7], v[2:3], off
	global_load_dwordx2 v[2:3], v68, s[12:13] offset:2816
	v_mad_u64_u32 v[6:7], s[4:5], s8, v14, v[6:7]
	v_add_u32_e32 v7, s2, v7
	v_lshl_add_u64 v[10:11], s[12:13], 0, v[68:69]
	v_add_co_u32_e32 v12, vcc, s3, v10
	s_movk_i32 s3, 0x2000
	s_nop 0
	v_addc_co_u32_e32 v13, vcc, 0, v11, vcc
	v_add_co_u32_e32 v10, vcc, s3, v10
	s_waitcnt vmcnt(0)
	v_mul_f32_e32 v8, v5, v3
	v_mul_f32_e32 v3, v4, v3
	v_fmac_f32_e32 v8, v4, v2
	v_fma_f32 v4, v2, v5, -v3
	v_cvt_f64_f32_e32 v[2:3], v8
	v_cvt_f64_f32_e32 v[4:5], v4
	v_mul_f64 v[2:3], v[2:3], s[0:1]
	v_mul_f64 v[4:5], v[4:5], s[0:1]
	v_cvt_f32_f64_e32 v2, v[2:3]
	v_cvt_f32_f64_e32 v3, v[4:5]
	global_store_dwordx2 v[6:7], v[2:3], off
	global_load_dwordx2 v[8:9], v68, s[12:13] offset:3520
	v_add_u32_e32 v2, 0xc00, v68
	ds_read2_b64 v[2:5], v2 offset0:56 offset1:144
	v_mad_u64_u32 v[6:7], s[4:5], s8, v14, v[6:7]
	v_add_u32_e32 v7, s2, v7
	v_addc_co_u32_e32 v11, vcc, 0, v11, vcc
	s_waitcnt vmcnt(0) lgkmcnt(0)
	v_mul_f32_e32 v15, v3, v9
	v_mul_f32_e32 v9, v2, v9
	v_fmac_f32_e32 v15, v2, v8
	v_fma_f32 v8, v8, v3, -v9
	v_cvt_f64_f32_e32 v[2:3], v15
	v_cvt_f64_f32_e32 v[8:9], v8
	v_mul_f64 v[2:3], v[2:3], s[0:1]
	v_mul_f64 v[8:9], v[8:9], s[0:1]
	v_cvt_f32_f64_e32 v2, v[2:3]
	v_cvt_f32_f64_e32 v3, v[8:9]
	global_store_dwordx2 v[6:7], v[2:3], off
	global_load_dwordx2 v[2:3], v[12:13], off offset:128
	v_mad_u64_u32 v[6:7], s[4:5], s8, v14, v[6:7]
	v_add_u32_e32 v7, s2, v7
	s_waitcnt vmcnt(0)
	v_mul_f32_e32 v8, v5, v3
	v_mul_f32_e32 v3, v4, v3
	v_fmac_f32_e32 v8, v4, v2
	v_fma_f32 v4, v2, v5, -v3
	v_cvt_f64_f32_e32 v[2:3], v8
	v_cvt_f64_f32_e32 v[4:5], v4
	v_mul_f64 v[2:3], v[2:3], s[0:1]
	v_mul_f64 v[4:5], v[4:5], s[0:1]
	v_cvt_f32_f64_e32 v2, v[2:3]
	v_cvt_f32_f64_e32 v3, v[4:5]
	global_store_dwordx2 v[6:7], v[2:3], off
	global_load_dwordx2 v[8:9], v[12:13], off offset:832
	v_add_u32_e32 v2, 0x1000, v68
	ds_read2_b64 v[2:5], v2 offset0:104 offset1:192
	v_mad_u64_u32 v[6:7], s[4:5], s8, v14, v[6:7]
	v_add_u32_e32 v7, s2, v7
	s_waitcnt vmcnt(0) lgkmcnt(0)
	v_mul_f32_e32 v15, v3, v9
	v_mul_f32_e32 v9, v2, v9
	v_fmac_f32_e32 v15, v2, v8
	v_fma_f32 v8, v8, v3, -v9
	v_cvt_f64_f32_e32 v[2:3], v15
	v_cvt_f64_f32_e32 v[8:9], v8
	v_mul_f64 v[2:3], v[2:3], s[0:1]
	v_mul_f64 v[8:9], v[8:9], s[0:1]
	v_cvt_f32_f64_e32 v2, v[2:3]
	v_cvt_f32_f64_e32 v3, v[8:9]
	global_store_dwordx2 v[6:7], v[2:3], off
	global_load_dwordx2 v[2:3], v[12:13], off offset:1536
	v_mad_u64_u32 v[6:7], s[4:5], s8, v14, v[6:7]
	v_add_u32_e32 v7, s2, v7
	s_waitcnt vmcnt(0)
	v_mul_f32_e32 v8, v5, v3
	v_mul_f32_e32 v3, v4, v3
	v_fmac_f32_e32 v8, v4, v2
	v_fma_f32 v4, v2, v5, -v3
	v_cvt_f64_f32_e32 v[2:3], v8
	v_cvt_f64_f32_e32 v[4:5], v4
	v_mul_f64 v[2:3], v[2:3], s[0:1]
	v_mul_f64 v[4:5], v[4:5], s[0:1]
	v_cvt_f32_f64_e32 v2, v[2:3]
	v_cvt_f32_f64_e32 v3, v[4:5]
	global_store_dwordx2 v[6:7], v[2:3], off
	global_load_dwordx2 v[8:9], v[12:13], off offset:2240
	v_add_u32_e32 v2, 0x1800, v68
	ds_read2_b64 v[2:5], v2 offset0:24 offset1:112
	v_mad_u64_u32 v[6:7], s[4:5], s8, v14, v[6:7]
	v_add_u32_e32 v7, s2, v7
	;; [unrolled: 32-line block ×4, first 2 shown]
	s_waitcnt vmcnt(0) lgkmcnt(0)
	v_mul_f32_e32 v12, v3, v9
	v_mul_f32_e32 v9, v2, v9
	v_fmac_f32_e32 v12, v2, v8
	v_fma_f32 v8, v8, v3, -v9
	v_cvt_f64_f32_e32 v[2:3], v12
	v_cvt_f64_f32_e32 v[8:9], v8
	v_mul_f64 v[2:3], v[2:3], s[0:1]
	v_mul_f64 v[8:9], v[8:9], s[0:1]
	v_cvt_f32_f64_e32 v2, v[2:3]
	v_cvt_f32_f64_e32 v3, v[8:9]
	global_store_dwordx2 v[6:7], v[2:3], off
	global_load_dwordx2 v[2:3], v[10:11], off offset:1664
	v_mad_u64_u32 v[6:7], s[4:5], s8, v14, v[6:7]
	v_add_u32_e32 v7, s2, v7
	s_waitcnt vmcnt(0)
	v_mul_f32_e32 v8, v5, v3
	v_mul_f32_e32 v3, v4, v3
	v_fmac_f32_e32 v8, v4, v2
	v_fma_f32 v4, v2, v5, -v3
	v_cvt_f64_f32_e32 v[2:3], v8
	v_cvt_f64_f32_e32 v[4:5], v4
	v_mul_f64 v[2:3], v[2:3], s[0:1]
	v_mul_f64 v[4:5], v[4:5], s[0:1]
	v_cvt_f32_f64_e32 v2, v[2:3]
	v_cvt_f32_f64_e32 v3, v[4:5]
	global_store_dwordx2 v[6:7], v[2:3], off
	global_load_dwordx2 v[8:9], v[10:11], off offset:2368
	v_add_u32_e32 v2, 0x2800, v68
	ds_read2_b64 v[2:5], v2 offset0:40 offset1:128
	v_mad_u64_u32 v[6:7], s[4:5], s8, v14, v[6:7]
	v_or_b32_e32 v10, 0x580, v180
	v_add_u32_e32 v7, s2, v7
	v_lshlrev_b32_e32 v11, 3, v10
	s_waitcnt vmcnt(0) lgkmcnt(0)
	v_mul_f32_e32 v12, v3, v9
	v_mul_f32_e32 v9, v2, v9
	v_fmac_f32_e32 v12, v2, v8
	v_fma_f32 v8, v8, v3, -v9
	v_cvt_f64_f32_e32 v[2:3], v12
	v_cvt_f64_f32_e32 v[8:9], v8
	v_mul_f64 v[2:3], v[2:3], s[0:1]
	v_mul_f64 v[8:9], v[8:9], s[0:1]
	v_cvt_f32_f64_e32 v2, v[2:3]
	v_cvt_f32_f64_e32 v3, v[8:9]
	global_store_dwordx2 v[6:7], v[2:3], off
	global_load_dwordx2 v[2:3], v11, s[12:13]
	v_mad_u64_u32 v[6:7], s[2:3], s8, v10, 0
	v_mov_b32_e32 v8, v7
	v_mad_u64_u32 v[8:9], s[2:3], s9, v10, v[8:9]
	v_mov_b32_e32 v7, v8
	v_lshl_add_u64 v[0:1], v[6:7], 3, v[0:1]
	s_waitcnt vmcnt(0)
	v_mul_f32_e32 v8, v5, v3
	v_mul_f32_e32 v3, v4, v3
	v_fmac_f32_e32 v8, v4, v2
	v_fma_f32 v4, v2, v5, -v3
	v_cvt_f64_f32_e32 v[2:3], v8
	v_cvt_f64_f32_e32 v[4:5], v4
	v_mul_f64 v[2:3], v[2:3], s[0:1]
	v_mul_f64 v[4:5], v[4:5], s[0:1]
	v_cvt_f32_f64_e32 v2, v[2:3]
	v_cvt_f32_f64_e32 v3, v[4:5]
	global_store_dwordx2 v[0:1], v[2:3], off
.LBB0_23:
	s_endpgm
.LBB0_24:
	v_mov_b32_e32 v11, v9
	s_andn2_saveexec_b64 s[2:3], s[2:3]
	s_cbranch_execz .LBB0_19
.LBB0_25:
	v_add_u32_e32 v4, 0x800, v68
	ds_read2_b64 v[12:15], v4 offset0:16 offset1:152
	v_add_u32_e32 v4, 0x1000, v68
	v_add_u32_e32 v5, 0x1800, v68
	ds_read2_b64 v[0:3], v68 offset1:136
	ds_read2_b64 v[8:11], v5 offset0:48 offset1:184
	ds_read2_b64 v[4:7], v4 offset0:32 offset1:168
	v_add_u32_e32 v32, 0x2000, v68
	ds_read2_b64 v[48:51], v32 offset0:64 offset1:200
	ds_read_b64 v[72:73], v68 offset:10880
	s_waitcnt lgkmcnt(3)
	v_mov_b32_e32 v32, v10
	v_mov_b32_e32 v33, v8
	s_waitcnt lgkmcnt(2)
	v_mov_b32_e32 v10, v6
	v_mov_b32_e32 v6, v9
	s_or_b64 exec, exec, s[2:3]
	s_and_saveexec_b64 s[2:3], s[0:1]
	s_cbranch_execnz .LBB0_20
	s_branch .LBB0_21
	.section	.rodata,"a",@progbits
	.p2align	6, 0x0
	.amdhsa_kernel bluestein_single_fwd_len1496_dim1_sp_op_CI_CI
		.amdhsa_group_segment_fixed_size 11968
		.amdhsa_private_segment_fixed_size 0
		.amdhsa_kernarg_size 104
		.amdhsa_user_sgpr_count 2
		.amdhsa_user_sgpr_dispatch_ptr 0
		.amdhsa_user_sgpr_queue_ptr 0
		.amdhsa_user_sgpr_kernarg_segment_ptr 1
		.amdhsa_user_sgpr_dispatch_id 0
		.amdhsa_user_sgpr_kernarg_preload_length 0
		.amdhsa_user_sgpr_kernarg_preload_offset 0
		.amdhsa_user_sgpr_private_segment_size 0
		.amdhsa_uses_dynamic_stack 0
		.amdhsa_enable_private_segment 0
		.amdhsa_system_sgpr_workgroup_id_x 1
		.amdhsa_system_sgpr_workgroup_id_y 0
		.amdhsa_system_sgpr_workgroup_id_z 0
		.amdhsa_system_sgpr_workgroup_info 0
		.amdhsa_system_vgpr_workitem_id 0
		.amdhsa_next_free_vgpr 290
		.amdhsa_next_free_sgpr 80
		.amdhsa_accum_offset 256
		.amdhsa_reserve_vcc 1
		.amdhsa_float_round_mode_32 0
		.amdhsa_float_round_mode_16_64 0
		.amdhsa_float_denorm_mode_32 3
		.amdhsa_float_denorm_mode_16_64 3
		.amdhsa_dx10_clamp 1
		.amdhsa_ieee_mode 1
		.amdhsa_fp16_overflow 0
		.amdhsa_tg_split 0
		.amdhsa_exception_fp_ieee_invalid_op 0
		.amdhsa_exception_fp_denorm_src 0
		.amdhsa_exception_fp_ieee_div_zero 0
		.amdhsa_exception_fp_ieee_overflow 0
		.amdhsa_exception_fp_ieee_underflow 0
		.amdhsa_exception_fp_ieee_inexact 0
		.amdhsa_exception_int_div_zero 0
	.end_amdhsa_kernel
	.text
.Lfunc_end0:
	.size	bluestein_single_fwd_len1496_dim1_sp_op_CI_CI, .Lfunc_end0-bluestein_single_fwd_len1496_dim1_sp_op_CI_CI
                                        ; -- End function
	.section	.AMDGPU.csdata,"",@progbits
; Kernel info:
; codeLenInByte = 19660
; NumSgprs: 86
; NumVgprs: 256
; NumAgprs: 34
; TotalNumVgprs: 290
; ScratchSize: 0
; MemoryBound: 0
; FloatMode: 240
; IeeeMode: 1
; LDSByteSize: 11968 bytes/workgroup (compile time only)
; SGPRBlocks: 10
; VGPRBlocks: 36
; NumSGPRsForWavesPerEU: 86
; NumVGPRsForWavesPerEU: 290
; AccumOffset: 256
; Occupancy: 1
; WaveLimiterHint : 1
; COMPUTE_PGM_RSRC2:SCRATCH_EN: 0
; COMPUTE_PGM_RSRC2:USER_SGPR: 2
; COMPUTE_PGM_RSRC2:TRAP_HANDLER: 0
; COMPUTE_PGM_RSRC2:TGID_X_EN: 1
; COMPUTE_PGM_RSRC2:TGID_Y_EN: 0
; COMPUTE_PGM_RSRC2:TGID_Z_EN: 0
; COMPUTE_PGM_RSRC2:TIDIG_COMP_CNT: 0
; COMPUTE_PGM_RSRC3_GFX90A:ACCUM_OFFSET: 63
; COMPUTE_PGM_RSRC3_GFX90A:TG_SPLIT: 0
	.text
	.p2alignl 6, 3212836864
	.fill 256, 4, 3212836864
	.type	__hip_cuid_1bc3f891267fe037,@object ; @__hip_cuid_1bc3f891267fe037
	.section	.bss,"aw",@nobits
	.globl	__hip_cuid_1bc3f891267fe037
__hip_cuid_1bc3f891267fe037:
	.byte	0                               ; 0x0
	.size	__hip_cuid_1bc3f891267fe037, 1

	.ident	"AMD clang version 19.0.0git (https://github.com/RadeonOpenCompute/llvm-project roc-6.4.0 25133 c7fe45cf4b819c5991fe208aaa96edf142730f1d)"
	.section	".note.GNU-stack","",@progbits
	.addrsig
	.addrsig_sym __hip_cuid_1bc3f891267fe037
	.amdgpu_metadata
---
amdhsa.kernels:
  - .agpr_count:     34
    .args:
      - .actual_access:  read_only
        .address_space:  global
        .offset:         0
        .size:           8
        .value_kind:     global_buffer
      - .actual_access:  read_only
        .address_space:  global
        .offset:         8
        .size:           8
        .value_kind:     global_buffer
      - .actual_access:  read_only
        .address_space:  global
        .offset:         16
        .size:           8
        .value_kind:     global_buffer
      - .actual_access:  read_only
        .address_space:  global
        .offset:         24
        .size:           8
        .value_kind:     global_buffer
      - .actual_access:  read_only
        .address_space:  global
        .offset:         32
        .size:           8
        .value_kind:     global_buffer
      - .offset:         40
        .size:           8
        .value_kind:     by_value
      - .address_space:  global
        .offset:         48
        .size:           8
        .value_kind:     global_buffer
      - .address_space:  global
        .offset:         56
        .size:           8
        .value_kind:     global_buffer
      - .address_space:  global
        .offset:         64
        .size:           8
        .value_kind:     global_buffer
      - .address_space:  global
        .offset:         72
        .size:           8
        .value_kind:     global_buffer
      - .offset:         80
        .size:           4
        .value_kind:     by_value
      - .address_space:  global
        .offset:         88
        .size:           8
        .value_kind:     global_buffer
      - .address_space:  global
        .offset:         96
        .size:           8
        .value_kind:     global_buffer
    .group_segment_fixed_size: 11968
    .kernarg_segment_align: 8
    .kernarg_segment_size: 104
    .language:       OpenCL C
    .language_version:
      - 2
      - 0
    .max_flat_workgroup_size: 187
    .name:           bluestein_single_fwd_len1496_dim1_sp_op_CI_CI
    .private_segment_fixed_size: 0
    .sgpr_count:     86
    .sgpr_spill_count: 0
    .symbol:         bluestein_single_fwd_len1496_dim1_sp_op_CI_CI.kd
    .uniform_work_group_size: 1
    .uses_dynamic_stack: false
    .vgpr_count:     290
    .vgpr_spill_count: 0
    .wavefront_size: 64
amdhsa.target:   amdgcn-amd-amdhsa--gfx950
amdhsa.version:
  - 1
  - 2
...

	.end_amdgpu_metadata
